;; amdgpu-corpus repo=ROCm/rocFFT kind=compiled arch=gfx906 opt=O3
	.text
	.amdgcn_target "amdgcn-amd-amdhsa--gfx906"
	.amdhsa_code_object_version 6
	.protected	bluestein_single_back_len1320_dim1_half_op_CI_CI ; -- Begin function bluestein_single_back_len1320_dim1_half_op_CI_CI
	.globl	bluestein_single_back_len1320_dim1_half_op_CI_CI
	.p2align	8
	.type	bluestein_single_back_len1320_dim1_half_op_CI_CI,@function
bluestein_single_back_len1320_dim1_half_op_CI_CI: ; @bluestein_single_back_len1320_dim1_half_op_CI_CI
; %bb.0:
	s_load_dwordx4 s[0:3], s[4:5], 0x28
	v_mul_u32_u24_e32 v1, 0x18e, v0
	v_add_u32_sdwa v14, s6, v1 dst_sel:DWORD dst_unused:UNUSED_PAD src0_sel:DWORD src1_sel:WORD_1
	v_mov_b32_e32 v15, 0
	s_waitcnt lgkmcnt(0)
	v_cmp_gt_u64_e32 vcc, s[0:1], v[14:15]
	s_and_saveexec_b64 s[0:1], vcc
	s_cbranch_execz .LBB0_31
; %bb.1:
	s_load_dwordx2 s[6:7], s[4:5], 0x0
	s_load_dwordx2 s[12:13], s[4:5], 0x38
	s_movk_i32 s0, 0xa5
	v_mul_lo_u16_sdwa v1, v1, s0 dst_sel:DWORD dst_unused:UNUSED_PAD src0_sel:WORD_1 src1_sel:DWORD
	v_sub_u16_e32 v32, v0, v1
	s_movk_i32 s0, 0x78
	v_cmp_gt_u16_e64 s[0:1], s0, v32
	v_lshlrev_b32_e32 v31, 2, v32
	s_and_saveexec_b64 s[8:9], s[0:1]
	s_cbranch_execz .LBB0_3
; %bb.2:
	s_load_dwordx2 s[10:11], s[4:5], 0x18
	s_waitcnt lgkmcnt(0)
	s_load_dwordx4 s[16:19], s[10:11], 0x0
	s_waitcnt lgkmcnt(0)
	v_mad_u64_u32 v[0:1], s[10:11], s18, v14, 0
	v_mad_u64_u32 v[2:3], s[10:11], s16, v32, 0
	;; [unrolled: 1-line block ×4, first 2 shown]
	v_mov_b32_e32 v1, v4
	v_lshlrev_b64 v[0:1], 2, v[0:1]
	v_mov_b32_e32 v3, v5
	v_mov_b32_e32 v6, s3
	v_lshlrev_b64 v[2:3], 2, v[2:3]
	v_add_co_u32_e32 v0, vcc, s2, v0
	v_addc_co_u32_e32 v1, vcc, v6, v1, vcc
	v_add_co_u32_e32 v0, vcc, v0, v2
	s_mul_i32 s2, s17, 0x1e0
	s_mul_hi_u32 s3, s16, 0x1e0
	v_addc_co_u32_e32 v1, vcc, v1, v3, vcc
	s_add_i32 s2, s3, s2
	s_mul_i32 s3, s16, 0x1e0
	v_mov_b32_e32 v3, s2
	v_add_co_u32_e32 v2, vcc, s3, v0
	v_addc_co_u32_e32 v3, vcc, v1, v3, vcc
	global_load_dword v4, v[0:1], off
	global_load_dword v5, v[2:3], off
	global_load_dword v6, v31, s[6:7]
	global_load_dword v7, v31, s[6:7] offset:480
	global_load_dword v8, v31, s[6:7] offset:960
	;; [unrolled: 1-line block ×7, first 2 shown]
	v_mov_b32_e32 v1, s2
	v_add_co_u32_e32 v0, vcc, s3, v2
	v_addc_co_u32_e32 v1, vcc, v3, v1, vcc
	global_load_dword v19, v[0:1], off
	v_mov_b32_e32 v15, s2
	v_add_co_u32_e32 v0, vcc, s3, v0
	v_addc_co_u32_e32 v1, vcc, v1, v15, vcc
	global_load_dword v15, v[0:1], off
	v_mov_b32_e32 v16, s2
	v_add_co_u32_e32 v0, vcc, s3, v0
	v_addc_co_u32_e32 v1, vcc, v1, v16, vcc
	v_mov_b32_e32 v17, s2
	v_add_co_u32_e32 v2, vcc, s3, v0
	v_addc_co_u32_e32 v3, vcc, v1, v17, vcc
	global_load_dword v17, v[0:1], off
	v_mov_b32_e32 v18, s2
	v_add_co_u32_e32 v0, vcc, s3, v2
	v_addc_co_u32_e32 v1, vcc, v3, v18, vcc
	global_load_dword v18, v[2:3], off
	v_add_co_u32_e32 v2, vcc, s3, v0
	v_addc_co_u32_e32 v3, vcc, v1, v16, vcc
	global_load_dword v16, v[0:1], off
	v_mov_b32_e32 v20, s2
	v_add_co_u32_e32 v0, vcc, s3, v2
	global_load_dword v21, v[2:3], off
	v_addc_co_u32_e32 v1, vcc, v3, v20, vcc
	v_add_co_u32_e32 v2, vcc, s3, v0
	v_addc_co_u32_e32 v3, vcc, v1, v20, vcc
	global_load_dword v20, v[0:1], off
	v_mov_b32_e32 v0, s7
	v_add_co_u32_e32 v1, vcc, s6, v31
	v_addc_co_u32_e32 v23, vcc, 0, v0, vcc
	global_load_dword v24, v31, s[6:7] offset:3840
	s_movk_i32 s10, 0x1000
	v_add_co_u32_e32 v0, vcc, s10, v1
	global_load_dword v22, v[2:3], off
	v_addc_co_u32_e32 v1, vcc, 0, v23, vcc
	global_load_dword v23, v[0:1], off offset:224
	v_mov_b32_e32 v25, s2
	v_add_co_u32_e32 v2, vcc, s3, v2
	v_addc_co_u32_e32 v3, vcc, v3, v25, vcc
	global_load_dword v25, v[2:3], off
	global_load_dword v26, v[0:1], off offset:704
	s_waitcnt vmcnt(21)
	v_lshrrev_b32_e32 v0, 16, v4
	s_waitcnt vmcnt(20)
	v_lshrrev_b32_e32 v2, 16, v5
	s_waitcnt vmcnt(19)
	v_mul_f16_sdwa v1, v6, v4 dst_sel:DWORD dst_unused:UNUSED_PAD src0_sel:WORD_1 src1_sel:DWORD
	s_waitcnt vmcnt(18)
	v_mul_f16_sdwa v3, v7, v5 dst_sel:DWORD dst_unused:UNUSED_PAD src0_sel:WORD_1 src1_sel:DWORD
	v_fma_f16 v1, v6, v0, -v1
	v_mul_f16_sdwa v0, v6, v0 dst_sel:DWORD dst_unused:UNUSED_PAD src0_sel:WORD_1 src1_sel:DWORD
	v_fma_f16 v3, v7, v2, -v3
	v_mul_f16_sdwa v2, v7, v2 dst_sel:DWORD dst_unused:UNUSED_PAD src0_sel:WORD_1 src1_sel:DWORD
	v_fma_f16 v0, v6, v4, v0
	v_fma_f16 v2, v7, v5, v2
	v_pack_b32_f16 v0, v0, v1
	v_pack_b32_f16 v1, v2, v3
	ds_write2_b32 v31, v0, v1 offset1:120
	s_waitcnt vmcnt(11)
	v_lshrrev_b32_e32 v0, 16, v19
	v_mul_f16_sdwa v1, v8, v0 dst_sel:DWORD dst_unused:UNUSED_PAD src0_sel:WORD_1 src1_sel:DWORD
	v_mul_f16_sdwa v2, v8, v19 dst_sel:DWORD dst_unused:UNUSED_PAD src0_sel:WORD_1 src1_sel:DWORD
	v_fma_f16 v1, v8, v19, v1
	v_fma_f16 v0, v8, v0, -v2
	v_pack_b32_f16 v0, v1, v0
	s_waitcnt vmcnt(10)
	v_lshrrev_b32_e32 v1, 16, v15
	v_mul_f16_sdwa v2, v9, v1 dst_sel:DWORD dst_unused:UNUSED_PAD src0_sel:WORD_1 src1_sel:DWORD
	v_mul_f16_sdwa v3, v9, v15 dst_sel:DWORD dst_unused:UNUSED_PAD src0_sel:WORD_1 src1_sel:DWORD
	v_fma_f16 v2, v9, v15, v2
	v_fma_f16 v1, v9, v1, -v3
	v_pack_b32_f16 v1, v2, v1
	v_add_u32_e32 v2, 0x200, v31
	ds_write2_b32 v2, v0, v1 offset0:112 offset1:232
	s_waitcnt vmcnt(9)
	v_lshrrev_b32_e32 v0, 16, v17
	v_mul_f16_sdwa v1, v10, v0 dst_sel:DWORD dst_unused:UNUSED_PAD src0_sel:WORD_1 src1_sel:DWORD
	v_mul_f16_sdwa v2, v10, v17 dst_sel:DWORD dst_unused:UNUSED_PAD src0_sel:WORD_1 src1_sel:DWORD
	v_fma_f16 v1, v10, v17, v1
	v_fma_f16 v0, v10, v0, -v2
	v_pack_b32_f16 v0, v1, v0
	s_waitcnt vmcnt(8)
	v_lshrrev_b32_e32 v1, 16, v18
	v_mul_f16_sdwa v2, v11, v1 dst_sel:DWORD dst_unused:UNUSED_PAD src0_sel:WORD_1 src1_sel:DWORD
	v_mul_f16_sdwa v3, v11, v18 dst_sel:DWORD dst_unused:UNUSED_PAD src0_sel:WORD_1 src1_sel:DWORD
	v_fma_f16 v2, v11, v18, v2
	v_fma_f16 v1, v11, v1, -v3
	v_pack_b32_f16 v1, v2, v1
	v_add_u32_e32 v2, 0x600, v31
	ds_write2_b32 v2, v0, v1 offset0:96 offset1:216
	;; [unrolled: 16-line block ×3, first 2 shown]
	s_waitcnt vmcnt(5)
	v_lshrrev_b32_e32 v0, 16, v20
	s_waitcnt vmcnt(4)
	v_mul_f16_sdwa v1, v24, v0 dst_sel:DWORD dst_unused:UNUSED_PAD src0_sel:WORD_1 src1_sel:DWORD
	v_mul_f16_sdwa v2, v24, v20 dst_sel:DWORD dst_unused:UNUSED_PAD src0_sel:WORD_1 src1_sel:DWORD
	v_fma_f16 v1, v24, v20, v1
	v_fma_f16 v0, v24, v0, -v2
	v_pack_b32_f16 v0, v1, v0
	s_waitcnt vmcnt(3)
	v_lshrrev_b32_e32 v1, 16, v22
	s_waitcnt vmcnt(2)
	v_mul_f16_sdwa v2, v23, v1 dst_sel:DWORD dst_unused:UNUSED_PAD src0_sel:WORD_1 src1_sel:DWORD
	v_mul_f16_sdwa v3, v23, v22 dst_sel:DWORD dst_unused:UNUSED_PAD src0_sel:WORD_1 src1_sel:DWORD
	v_fma_f16 v2, v23, v22, v2
	v_fma_f16 v1, v23, v1, -v3
	v_pack_b32_f16 v1, v2, v1
	v_add_u32_e32 v2, 0xe00, v31
	ds_write2_b32 v2, v0, v1 offset0:64 offset1:184
	s_waitcnt vmcnt(1)
	v_lshrrev_b32_e32 v0, 16, v25
	s_waitcnt vmcnt(0)
	v_mul_f16_sdwa v1, v26, v0 dst_sel:DWORD dst_unused:UNUSED_PAD src0_sel:WORD_1 src1_sel:DWORD
	v_mul_f16_sdwa v2, v26, v25 dst_sel:DWORD dst_unused:UNUSED_PAD src0_sel:WORD_1 src1_sel:DWORD
	v_fma_f16 v1, v26, v25, v1
	v_fma_f16 v0, v26, v0, -v2
	v_pack_b32_f16 v0, v1, v0
	ds_write_b32 v31, v0 offset:4800
.LBB0_3:
	s_or_b64 exec, exec, s[8:9]
	s_load_dwordx2 s[2:3], s[4:5], 0x20
	s_load_dwordx2 s[14:15], s[4:5], 0x8
	v_mov_b32_e32 v0, 0
	s_waitcnt lgkmcnt(0)
	s_barrier
	s_waitcnt lgkmcnt(0)
                                        ; implicit-def: $vgpr17
                                        ; implicit-def: $vgpr9
                                        ; implicit-def: $vgpr7
                                        ; implicit-def: $vgpr5
                                        ; implicit-def: $vgpr3
	s_and_saveexec_b64 s[4:5], s[0:1]
	s_cbranch_execz .LBB0_5
; %bb.4:
	v_add_u32_e32 v2, 0x200, v31
	v_add_u32_e32 v4, 0x600, v31
	;; [unrolled: 1-line block ×4, first 2 shown]
	ds_read2_b32 v[0:1], v31 offset1:120
	ds_read2_b32 v[2:3], v2 offset0:112 offset1:232
	ds_read2_b32 v[4:5], v4 offset0:96 offset1:216
	;; [unrolled: 1-line block ×4, first 2 shown]
	ds_read_b32 v17, v31 offset:4800
.LBB0_5:
	s_or_b64 exec, exec, s[4:5]
	s_waitcnt lgkmcnt(0)
	v_pk_add_f16 v16, v1, v17 neg_lo:[0,1] neg_hi:[0,1]
	s_mov_b32 s10, 0xb853
	v_pk_add_f16 v15, v17, v1
	s_movk_i32 s8, 0x3abb
	v_mul_f16_sdwa v24, v16, s10 dst_sel:DWORD dst_unused:UNUSED_PAD src0_sel:WORD_1 src1_sel:DWORD
	s_mov_b32 s4, 0xbb47
	v_pk_add_f16 v19, v2, v9 neg_lo:[0,1] neg_hi:[0,1]
	v_fma_f16 v10, v15, s8, v24
	v_lshrrev_b32_e32 v33, 16, v15
	s_movk_i32 s9, 0x36a6
	v_mul_f16_e32 v28, 0xbb47, v16
	v_pk_add_f16 v18, v9, v2
	v_mul_f16_sdwa v27, v19, s4 dst_sel:DWORD dst_unused:UNUSED_PAD src0_sel:WORD_1 src1_sel:DWORD
	v_add_f16_e32 v10, v10, v0
	v_fma_f16 v11, v33, s9, -v28
	v_fma_f16 v12, v18, s9, v27
	v_lshrrev_b32_e32 v41, 16, v18
	s_mov_b32 s16, 0xb93d
	v_mul_f16_e32 v29, 0xba0c, v19
	s_mov_b32 s19, 0xbbeb
	v_add_f16_sdwa v11, v11, v0 dst_sel:DWORD dst_unused:UNUSED_PAD src0_sel:DWORD src1_sel:WORD_1
	v_add_f16_e32 v10, v12, v10
	v_fma_f16 v12, v41, s16, -v29
	s_mov_b32 s17, 0xb08e
	v_mul_f16_sdwa v37, v16, s19 dst_sel:DWORD dst_unused:UNUSED_PAD src0_sel:WORD_1 src1_sel:DWORD
	s_movk_i32 s4, 0x3482
	v_add_f16_e32 v11, v12, v11
	v_fma_f16 v12, v15, s17, v37
	s_mov_b32 s11, 0xbbad
	v_mul_f16_sdwa v38, v19, s4 dst_sel:DWORD dst_unused:UNUSED_PAD src0_sel:WORD_1 src1_sel:DWORD
	v_add_f16_e32 v12, v12, v0
	v_fma_f16 v13, v18, s11, v38
	v_mul_f16_e32 v42, 0xbbeb, v16
	v_add_f16_e32 v12, v13, v12
	v_fma_f16 v13, v33, s17, -v42
	v_mul_f16_e32 v43, 0x3482, v19
	v_add_f16_sdwa v13, v13, v0 dst_sel:DWORD dst_unused:UNUSED_PAD src0_sel:DWORD src1_sel:WORD_1
	v_fma_f16 v20, v41, s11, -v43
	v_pk_add_f16 v21, v3, v8 neg_lo:[0,1] neg_hi:[0,1]
	v_add_f16_e32 v13, v20, v13
	v_pk_add_f16 v20, v8, v3
	v_mul_f16_sdwa v30, v21, s19 dst_sel:DWORD dst_unused:UNUSED_PAD src0_sel:WORD_1 src1_sel:DWORD
	v_fma_f16 v22, v20, s17, v30
	v_lshrrev_b32_e32 v48, 16, v20
	v_mul_f16_e32 v40, 0x3482, v21
	s_movk_i32 s18, 0x3b47
	v_add_f16_e32 v10, v22, v10
	v_fma_f16 v22, v48, s11, -v40
	v_mul_f16_sdwa v44, v21, s18 dst_sel:DWORD dst_unused:UNUSED_PAD src0_sel:WORD_1 src1_sel:DWORD
	v_add_f16_e32 v11, v22, v11
	v_fma_f16 v22, v20, s9, v44
	v_mul_f16_e32 v47, 0x3b47, v21
	v_add_f16_e32 v12, v22, v12
	v_fma_f16 v22, v48, s9, -v47
	s_mov_b32 s20, 0xba0c
	v_pk_add_f16 v23, v4, v7 neg_lo:[0,1] neg_hi:[0,1]
	v_add_f16_e32 v13, v22, v13
	v_pk_add_f16 v22, v7, v4
	v_mul_f16_sdwa v39, v23, s20 dst_sel:DWORD dst_unused:UNUSED_PAD src0_sel:WORD_1 src1_sel:DWORD
	v_fma_f16 v25, v22, s16, v39
	v_lshrrev_b32_e32 v52, 16, v22
	v_mul_f16_e32 v46, 0x3beb, v23
	v_add_f16_e32 v10, v25, v10
	v_fma_f16 v25, v52, s17, -v46
	v_mul_f16_sdwa v49, v23, s10 dst_sel:DWORD dst_unused:UNUSED_PAD src0_sel:WORD_1 src1_sel:DWORD
	v_add_f16_e32 v11, v25, v11
	v_fma_f16 v25, v22, s8, v49
	v_mul_f16_e32 v50, 0xb853, v23
	v_add_f16_e32 v12, v25, v12
	v_fma_f16 v25, v52, s8, -v50
	s_mov_b32 s21, 0xb482
	v_pk_add_f16 v26, v5, v6 neg_lo:[0,1] neg_hi:[0,1]
	v_add_f16_e32 v13, v25, v13
	v_pk_add_f16 v25, v6, v5
	v_mul_f16_sdwa v45, v26, s21 dst_sel:DWORD dst_unused:UNUSED_PAD src0_sel:WORD_1 src1_sel:DWORD
	v_fma_f16 v34, v25, s11, v45
	v_lshrrev_b32_e32 v60, 16, v25
	v_mul_f16_e32 v51, 0x3853, v26
	v_add_f16_e32 v35, v34, v10
	v_fma_f16 v10, v60, s8, -v51
	v_mul_f16_sdwa v55, v26, s20 dst_sel:DWORD dst_unused:UNUSED_PAD src0_sel:WORD_1 src1_sel:DWORD
	v_add_f16_e32 v10, v10, v11
	v_fma_f16 v11, v25, s16, v55
	v_mul_f16_e32 v63, 0xba0c, v26
	v_add_f16_e32 v12, v11, v12
	v_fma_f16 v11, v60, s16, -v63
	s_mov_b32 s4, 0x3abb36a6
	v_add_f16_e32 v13, v11, v13
	s_mov_b32 s5, 0xbb47b853
	v_pk_mul_f16 v11, v15, s4
	s_mov_b32 s4, 0x36a6b93d
	v_pk_fma_f16 v53, v16, s5, v11 op_sel:[0,0,1] op_sel_hi:[1,1,0] neg_lo:[1,0,0] neg_hi:[1,0,0]
	v_pk_fma_f16 v54, v16, s5, v11 op_sel:[0,0,1] op_sel_hi:[1,1,0]
	s_mov_b32 s5, 0xba0cbb47
	v_pk_mul_f16 v11, v18, s4
	s_mov_b32 s4, 0xb08ebbad
	v_pk_fma_f16 v56, v19, s5, v11 op_sel:[0,0,1] op_sel_hi:[1,1,0] neg_lo:[1,0,0] neg_hi:[1,0,0]
	v_pk_fma_f16 v57, v19, s5, v11 op_sel:[0,0,1] op_sel_hi:[1,1,0]
	;; [unrolled: 5-line block ×3, first 2 shown]
	s_mov_b32 s5, 0x3bebba0c
	v_pk_mul_f16 v11, v22, s4
	v_pk_fma_f16 v61, v23, s5, v11 op_sel:[0,0,1] op_sel_hi:[1,1,0] neg_lo:[1,0,0] neg_hi:[1,0,0]
	v_pk_fma_f16 v62, v23, s5, v11 op_sel:[0,0,1] op_sel_hi:[1,1,0]
	v_add_f16_sdwa v11, v53, v0 dst_sel:DWORD dst_unused:UNUSED_PAD src0_sel:DWORD src1_sel:WORD_1
	s_mov_b32 s4, 0xbbad3abb
	v_add_f16_e32 v11, v56, v11
	s_mov_b32 s5, 0x3853b482
	v_add_f16_e32 v11, v58, v11
	v_pk_mul_f16 v34, v25, s4
	v_add_f16_e32 v11, v61, v11
	v_pk_fma_f16 v64, v26, s5, v34 op_sel:[0,0,1] op_sel_hi:[1,1,0] neg_lo:[1,0,0] neg_hi:[1,0,0]
	v_add_f16_e32 v36, v64, v11
	v_add_f16_sdwa v11, v54, v0 dst_sel:DWORD dst_unused:UNUSED_PAD src0_sel:WORD_1 src1_sel:DWORD
	v_add_f16_sdwa v11, v57, v11 dst_sel:DWORD dst_unused:UNUSED_PAD src0_sel:WORD_1 src1_sel:DWORD
	;; [unrolled: 1-line block ×3, first 2 shown]
	v_pk_fma_f16 v65, v26, s5, v34 op_sel:[0,0,1] op_sel_hi:[1,1,0]
	v_add_f16_sdwa v11, v62, v11 dst_sel:DWORD dst_unused:UNUSED_PAD src0_sel:WORD_1 src1_sel:DWORD
	s_movk_i32 s22, 0x3beb
	s_movk_i32 s23, 0x3853
	v_add_f16_sdwa v11, v65, v11 dst_sel:DWORD dst_unused:UNUSED_PAD src0_sel:WORD_1 src1_sel:DWORD
	v_mul_lo_u16_e32 v34, 11, v32
	s_barrier
	s_and_saveexec_b64 s[4:5], s[0:1]
	s_cbranch_execz .LBB0_7
; %bb.6:
	v_pk_add_f16 v1, v1, v0
	v_pk_add_f16 v1, v2, v1
	;; [unrolled: 1-line block ×3, first 2 shown]
	v_mul_f16_e32 v66, 0x3abb, v15
	v_mul_f16_e32 v68, 0x36a6, v33
	v_pk_add_f16 v1, v4, v1
	v_mul_f16_e32 v69, 0xb08e, v15
	v_mul_f16_e32 v70, 0x36a6, v18
	;; [unrolled: 1-line block ×3, first 2 shown]
	v_add_f16_e32 v28, v28, v68
	v_sub_f16_e32 v24, v66, v24
	v_pk_add_f16 v1, v5, v1
	v_mul_f16_e32 v72, 0xbbad, v18
	v_mul_f16_e32 v73, 0xb08e, v20
	;; [unrolled: 1-line block ×3, first 2 shown]
	v_sub_f16_e32 v37, v69, v37
	v_add_f16_sdwa v28, v28, v0 dst_sel:DWORD dst_unused:UNUSED_PAD src0_sel:DWORD src1_sel:WORD_1
	v_add_f16_e32 v29, v29, v71
	v_add_f16_e32 v24, v24, v0
	v_sub_f16_e32 v27, v70, v27
	v_pk_add_f16 v1, v6, v1
	v_mul_f16_e32 v33, 0xb08e, v33
	v_mul_f16_e32 v75, 0x36a6, v20
	;; [unrolled: 1-line block ×4, first 2 shown]
	v_add_f16_e32 v37, v37, v0
	v_sub_f16_e32 v38, v72, v38
	v_add_f16_e32 v28, v29, v28
	v_add_f16_e32 v29, v40, v74
	v_add_f16_e32 v24, v27, v24
	v_sub_f16_e32 v27, v73, v30
	v_pk_add_f16 v1, v7, v1
	v_mul_f16_e32 v41, 0xbbad, v41
	v_mul_f16_e32 v78, 0x3abb, v22
	;; [unrolled: 1-line block ×4, first 2 shown]
	v_add_f16_e32 v33, v42, v33
	v_add_f16_e32 v37, v38, v37
	v_sub_f16_e32 v38, v75, v44
	v_add_f16_e32 v28, v29, v28
	v_add_f16_e32 v29, v46, v77
	;; [unrolled: 1-line block ×3, first 2 shown]
	v_sub_f16_e32 v27, v76, v39
	v_pk_add_f16 v1, v8, v1
	v_mul_f16_e32 v48, 0x36a6, v48
	v_mul_f16_e32 v81, 0xb93d, v25
	v_add_f16_sdwa v33, v33, v0 dst_sel:DWORD dst_unused:UNUSED_PAD src0_sel:DWORD src1_sel:WORD_1
	v_add_f16_e32 v41, v43, v41
	v_add_f16_e32 v37, v38, v37
	v_sub_f16_e32 v38, v78, v49
	v_add_f16_e32 v28, v29, v28
	v_add_f16_e32 v29, v51, v80
	s_mov_b32 s24, 0xffff
	v_add_f16_e32 v24, v27, v24
	v_sub_f16_e32 v27, v79, v45
	v_pk_add_f16 v1, v9, v1
	v_mul_f16_e32 v52, 0x3abb, v52
	v_add_f16_e32 v33, v41, v33
	v_add_f16_e32 v41, v47, v48
	;; [unrolled: 1-line block ×3, first 2 shown]
	v_sub_f16_e32 v38, v81, v55
	v_add_f16_e32 v28, v29, v28
	v_bfi_b32 v29, s24, v54, v53
	v_add_f16_e32 v24, v27, v24
	v_lshlrev_b32_e32 v27, 2, v34
	v_pk_add_f16 v1, v17, v1
	v_mul_f16_e32 v60, 0xb93d, v60
	v_add_f16_e32 v33, v41, v33
	v_add_f16_e32 v41, v50, v52
	;; [unrolled: 1-line block ×3, first 2 shown]
	v_bfi_b32 v38, s24, v57, v56
	ds_write_b32 v27, v1
	v_pk_add_f16 v1, v29, v0 op_sel:[0,1] op_sel_hi:[1,0]
	v_add_f16_e32 v33, v41, v33
	v_add_f16_e32 v41, v63, v60
	v_bfi_b32 v40, s24, v59, v58
	v_pk_add_f16 v1, v38, v1
	v_add_f16_e32 v33, v41, v33
	v_bfi_b32 v41, s24, v62, v61
	v_pk_add_f16 v1, v40, v1
	v_bfi_b32 v42, s24, v65, v64
	v_pk_add_f16 v1, v41, v1
	v_pk_add_f16 v1, v42, v1
	v_alignbit_b32 v2, v28, v1, 16
	v_pack_b32_f16 v1, v24, v1
	ds_write2_b32 v27, v1, v2 offset0:1 offset1:2
	v_pk_mul_f16 v1, v15, s11 op_sel_hi:[1,0]
	v_pk_fma_f16 v2, v16, s21, v1 op_sel:[0,0,1] op_sel_hi:[1,0,0] neg_lo:[1,0,0] neg_hi:[1,0,0]
	v_pk_mul_f16 v4, v18, s8 op_sel_hi:[1,0]
	v_pk_fma_f16 v1, v16, s21, v1 op_sel:[0,0,1] op_sel_hi:[1,0,0]
	v_pk_fma_f16 v5, v19, s23, v4 op_sel:[0,0,1] op_sel_hi:[1,0,0] neg_lo:[1,0,0] neg_hi:[1,0,0]
	v_pk_mul_f16 v6, v20, s16 op_sel_hi:[1,0]
	v_pk_add_f16 v1, v1, v0 op_sel:[0,1] op_sel_hi:[1,0]
	v_pk_fma_f16 v4, v19, s23, v4 op_sel:[0,0,1] op_sel_hi:[1,0,0]
	v_pk_mul_f16 v8, v22, s9 op_sel_hi:[1,0]
	v_pk_add_f16 v1, v4, v1
	v_pk_fma_f16 v4, v21, s20, v6 op_sel:[0,0,1] op_sel_hi:[1,0,0]
	v_alignbit_b32 v67, s0, v0, 16
	v_pk_mul_f16 v17, v25, s17 op_sel_hi:[1,0]
	v_pk_add_f16 v1, v4, v1
	v_pk_fma_f16 v4, v23, s18, v8 op_sel:[0,0,1] op_sel_hi:[1,0,0]
	v_pk_add_f16 v3, v2, v67
	v_pk_add_f16 v1, v4, v1
	v_pk_fma_f16 v4, v26, s19, v17 op_sel:[0,0,1] op_sel_hi:[1,0,0]
	v_alignbit_b32 v2, s0, v2, 16
	v_pk_fma_f16 v7, v21, s20, v6 op_sel:[0,0,1] op_sel_hi:[1,0,0] neg_lo:[1,0,0] neg_hi:[1,0,0]
	v_pk_add_f16 v1, v4, v1
	v_pk_add_f16 v2, v2, v0
	v_alignbit_b32 v4, s0, v5, 16
	v_pk_add_f16 v3, v5, v3
	v_pk_fma_f16 v9, v23, s18, v8 op_sel:[0,0,1] op_sel_hi:[1,0,0] neg_lo:[1,0,0] neg_hi:[1,0,0]
	v_pk_add_f16 v2, v4, v2
	v_alignbit_b32 v4, s0, v7, 16
	v_pk_add_f16 v3, v7, v3
	v_pk_fma_f16 v24, v26, s19, v17 op_sel:[0,0,1] op_sel_hi:[1,0,0] neg_lo:[1,0,0] neg_hi:[1,0,0]
	v_pk_add_f16 v2, v4, v2
	v_alignbit_b32 v4, s0, v9, 16
	v_pk_add_f16 v3, v9, v3
	v_pk_add_f16 v2, v4, v2
	v_alignbit_b32 v4, s0, v24, 16
	v_pk_add_f16 v3, v24, v3
	v_pk_add_f16 v2, v4, v2
	v_alignbit_b32 v3, v3, v1, 16
	v_pack_b32_f16 v1, v2, v1
	ds_write2_b32 v27, v1, v3 offset0:5 offset1:6
	v_pk_mul_f16 v1, v16, s20 op_sel_hi:[1,0]
	v_pk_fma_f16 v2, v15, s16, v1 op_sel:[0,0,1] op_sel_hi:[1,0,0]
	v_pk_fma_f16 v1, v15, s16, v1 op_sel:[0,0,1] op_sel_hi:[1,0,0] neg_lo:[0,0,1] neg_hi:[0,0,1]
	v_pk_mul_f16 v4, v19, s22 op_sel_hi:[1,0]
	v_bfi_b32 v3, s24, v2, v1
	v_pk_fma_f16 v5, v18, s17, v4 op_sel:[0,0,1] op_sel_hi:[1,0,0]
	v_pk_fma_f16 v4, v18, s17, v4 op_sel:[0,0,1] op_sel_hi:[1,0,0] neg_lo:[0,0,1] neg_hi:[0,0,1]
	v_pk_add_f16 v3, v3, v0
	v_bfi_b32 v6, s24, v5, v4
	v_pk_add_f16 v3, v6, v3
	v_pk_mul_f16 v6, v21, s10 op_sel_hi:[1,0]
	v_pk_fma_f16 v7, v20, s8, v6 op_sel:[0,0,1] op_sel_hi:[1,0,0]
	v_pk_fma_f16 v6, v20, s8, v6 op_sel:[0,0,1] op_sel_hi:[1,0,0] neg_lo:[0,0,1] neg_hi:[0,0,1]
	v_bfi_b32 v8, s24, v7, v6
	v_pk_add_f16 v3, v8, v3
	v_pk_mul_f16 v8, v23, s21 op_sel_hi:[1,0]
	v_lshrrev_b32_e32 v2, 16, v2
	v_pk_fma_f16 v9, v22, s11, v8 op_sel:[0,0,1] op_sel_hi:[1,0,0]
	v_pk_fma_f16 v8, v22, s11, v8 op_sel:[0,0,1] op_sel_hi:[1,0,0] neg_lo:[0,0,1] neg_hi:[0,0,1]
	v_add_f16_sdwa v2, v2, v0 dst_sel:DWORD dst_unused:UNUSED_PAD src0_sel:DWORD src1_sel:WORD_1
	v_add_f16_e32 v0, v1, v0
	v_bfi_b32 v15, s24, v9, v8
	v_add_f16_sdwa v2, v5, v2 dst_sel:DWORD dst_unused:UNUSED_PAD src0_sel:WORD_1 src1_sel:DWORD
	v_add_f16_e32 v0, v4, v0
	v_pk_add_f16 v3, v15, v3
	v_pk_mul_f16 v15, v26, s18 op_sel_hi:[1,0]
	v_add_f16_sdwa v2, v7, v2 dst_sel:DWORD dst_unused:UNUSED_PAD src0_sel:WORD_1 src1_sel:DWORD
	v_add_f16_e32 v0, v6, v0
	v_pk_fma_f16 v16, v25, s9, v15 op_sel:[0,0,1] op_sel_hi:[1,0,0]
	v_pk_fma_f16 v15, v25, s9, v15 op_sel:[0,0,1] op_sel_hi:[1,0,0] neg_lo:[0,0,1] neg_hi:[0,0,1]
	v_add_f16_sdwa v2, v9, v2 dst_sel:DWORD dst_unused:UNUSED_PAD src0_sel:WORD_1 src1_sel:DWORD
	v_add_f16_e32 v0, v8, v0
	v_add_f16_sdwa v2, v16, v2 dst_sel:DWORD dst_unused:UNUSED_PAD src0_sel:WORD_1 src1_sel:DWORD
	v_add_f16_e32 v0, v15, v0
	v_bfi_b32 v17, s24, v16, v15
	v_pack_b32_f16 v1, v37, v33
	v_pack_b32_f16 v0, v0, v2
	s_mov_b32 s8, 0x5040100
	v_pk_add_f16 v3, v17, v3
	ds_write2_b32 v27, v1, v0 offset0:3 offset1:4
	v_perm_b32 v0, v13, v12, s8
	ds_write2_b32 v27, v3, v0 offset0:7 offset1:8
	v_perm_b32 v0, v36, v35, s8
	v_perm_b32 v1, v10, v11, s8
	ds_write2_b32 v27, v1, v0 offset0:9 offset1:10
.LBB0_7:
	s_or_b64 exec, exec, s[4:5]
	s_load_dwordx4 s[8:11], s[2:3], 0x0
	s_movk_i32 s2, 0x1ef
	v_add_co_u32_e32 v0, vcc, s2, v32
	s_movk_i32 s2, 0x75
	v_mul_lo_u16_sdwa v1, v32, s2 dst_sel:DWORD dst_unused:UNUSED_PAD src0_sel:BYTE_0 src1_sel:DWORD
	v_sub_u16_sdwa v2, v32, v1 dst_sel:DWORD dst_unused:UNUSED_PAD src0_sel:DWORD src1_sel:BYTE_1
	v_lshrrev_b16_e32 v2, 1, v2
	v_and_b32_e32 v2, 0x7f, v2
	v_add_u16_sdwa v1, v2, v1 dst_sel:DWORD dst_unused:UNUSED_PAD src0_sel:DWORD src1_sel:BYTE_1
	v_add_u16_e32 v6, 0x14a, v32
	v_lshrrev_b16_e32 v7, 3, v1
	v_mul_u32_u24_e32 v9, 0xba2f, v6
	v_mul_lo_u16_e32 v1, 11, v7
	v_lshrrev_b32_e32 v24, 19, v9
	v_sub_u16_e32 v1, v32, v1
	v_add_u16_e32 v8, 0xa5, v32
	s_mov_b32 s2, 0xba2f
	v_mul_lo_u16_e32 v3, 11, v24
	v_and_b32_e32 v18, 0xff, v1
	v_mul_u32_u24_e32 v15, 0xba2f, v8
	v_sub_u16_e32 v25, v6, v3
	v_mul_u32_u24_sdwa v4, v0, s2 dst_sel:DWORD dst_unused:UNUSED_PAD src0_sel:WORD_0 src1_sel:DWORD
	v_lshlrev_b32_e32 v1, 2, v18
	v_lshrrev_b32_e32 v19, 19, v15
	v_lshlrev_b32_e32 v3, 2, v25
	v_lshrrev_b32_e32 v26, 19, v4
	s_waitcnt lgkmcnt(0)
	s_barrier
	v_mul_lo_u16_e32 v2, 11, v19
	global_load_dword v40, v1, s[14:15]
	global_load_dword v38, v3, s[14:15]
	v_mul_lo_u16_e32 v1, 11, v26
	v_sub_u16_e32 v20, v8, v2
	v_sub_u16_e32 v27, v0, v1
	v_lshlrev_b32_e32 v2, 2, v20
	v_lshlrev_b32_e32 v0, 2, v27
	global_load_dword v39, v2, s[14:15]
	global_load_dword v37, v0, s[14:15]
	v_mov_b32_e32 v0, 2
	v_lshlrev_b32_sdwa v33, v0, v32 dst_sel:DWORD dst_unused:UNUSED_PAD src0_sel:DWORD src1_sel:WORD_0
	v_add_u32_e32 v2, 0xa00, v33
	v_add_u32_e32 v4, 0x400, v33
	;; [unrolled: 1-line block ×3, first 2 shown]
	ds_read2_b32 v[0:1], v33 offset1:165
	ds_read2_b32 v[2:3], v2 offset0:20 offset1:185
	ds_read2_b32 v[4:5], v4 offset0:74 offset1:239
	;; [unrolled: 1-line block ×3, first 2 shown]
	v_mul_u32_u24_e32 v7, 22, v7
	v_add_lshl_u32 v44, v7, v18, 2
	s_waitcnt lgkmcnt(2)
	v_lshrrev_b32_e32 v22, 16, v2
	v_lshrrev_b32_e32 v21, 16, v0
	s_waitcnt lgkmcnt(0)
	v_lshrrev_b32_e32 v42, 16, v17
	v_lshrrev_b32_e32 v23, 16, v3
	;; [unrolled: 1-line block ×5, first 2 shown]
	s_waitcnt vmcnt(0)
	s_barrier
	v_lshrrev_b32_e32 v41, 16, v5
	s_movk_i32 s2, 0x6e
	v_cmp_gt_u16_e64 s[2:3], s2, v32
	v_mul_f16_sdwa v7, v22, v40 dst_sel:DWORD dst_unused:UNUSED_PAD src0_sel:DWORD src1_sel:WORD_1
	v_mul_f16_sdwa v18, v2, v40 dst_sel:DWORD dst_unused:UNUSED_PAD src0_sel:DWORD src1_sel:WORD_1
	;; [unrolled: 1-line block ×3, first 2 shown]
	v_fma_f16 v2, v2, v40, -v7
	v_fma_f16 v7, v22, v40, v18
	v_mul_f16_sdwa v46, v30, v38 dst_sel:DWORD dst_unused:UNUSED_PAD src0_sel:DWORD src1_sel:WORD_1
	v_fma_f16 v22, v30, v38, v47
	v_mul_f16_sdwa v43, v23, v39 dst_sel:DWORD dst_unused:UNUSED_PAD src0_sel:DWORD src1_sel:WORD_1
	v_mul_f16_sdwa v48, v42, v37 dst_sel:DWORD dst_unused:UNUSED_PAD src0_sel:DWORD src1_sel:WORD_1
	v_mul_f16_sdwa v45, v3, v39 dst_sel:DWORD dst_unused:UNUSED_PAD src0_sel:DWORD src1_sel:WORD_1
	v_mul_f16_sdwa v49, v17, v37 dst_sel:DWORD dst_unused:UNUSED_PAD src0_sel:DWORD src1_sel:WORD_1
	v_fma_f16 v17, v17, v37, -v48
	v_sub_f16_e32 v2, v0, v2
	v_sub_f16_e32 v30, v21, v7
	v_fma_f16 v3, v3, v39, -v43
	v_fma_f16 v18, v23, v39, v45
	v_fma_f16 v23, v42, v37, v49
	v_sub_f16_e32 v42, v29, v22
	v_sub_f16_e32 v22, v5, v17
	v_fma_f16 v0, v0, 2.0, -v2
	v_fma_f16 v17, v21, 2.0, -v30
	v_sub_f16_e32 v3, v1, v3
	v_sub_f16_e32 v18, v28, v18
	v_pack_b32_f16 v2, v2, v30
	v_pack_b32_f16 v0, v0, v17
	v_fma_f16 v16, v16, v38, -v46
	v_fma_f16 v1, v1, 2.0, -v3
	v_fma_f16 v28, v28, 2.0, -v18
	ds_write2_b32 v44, v0, v2 offset1:11
	v_mad_legacy_u16 v0, v19, 22, v20
	v_sub_f16_e32 v16, v4, v16
	v_lshlrev_b32_e32 v46, 2, v0
	v_pack_b32_f16 v0, v1, v28
	v_pack_b32_f16 v1, v3, v18
	v_fma_f16 v4, v4, 2.0, -v16
	v_fma_f16 v29, v29, 2.0, -v42
	ds_write2_b32 v46, v0, v1 offset1:11
	v_mad_legacy_u16 v0, v24, 22, v25
	v_sub_f16_e32 v23, v41, v23
	v_lshlrev_b32_e32 v47, 2, v0
	v_pack_b32_f16 v0, v4, v29
	v_pack_b32_f16 v1, v16, v42
	v_fma_f16 v21, v5, 2.0, -v22
	v_fma_f16 v7, v41, 2.0, -v23
	ds_write2_b32 v47, v0, v1 offset1:11
	v_mad_legacy_u16 v0, v26, 22, v27
	v_lshlrev_b32_e32 v48, 2, v0
	v_pack_b32_f16 v0, v21, v7
	v_pack_b32_f16 v1, v22, v23
	v_add_u32_e32 v2, 0x600, v33
	v_add_u32_e32 v4, 0xd00, v33
	ds_write2_b32 v48, v0, v1 offset1:11
	s_waitcnt lgkmcnt(0)
	s_barrier
	ds_read2_b32 v[0:1], v33 offset1:165
	ds_read2_b32 v[2:3], v2 offset0:56 offset1:221
	ds_read2_b32 v[4:5], v4 offset0:48 offset1:213
	s_and_saveexec_b64 s[4:5], s[2:3]
	s_cbranch_execz .LBB0_9
; %bb.8:
	ds_read_b32 v21, v33 offset:1320
	ds_read_b32 v22, v33 offset:3080
	;; [unrolled: 1-line block ×3, first 2 shown]
	s_waitcnt lgkmcnt(2)
	v_lshrrev_b32_e32 v7, 16, v21
	s_waitcnt lgkmcnt(1)
	v_lshrrev_b32_e32 v23, 16, v22
	;; [unrolled: 2-line block ×3, first 2 shown]
.LBB0_9:
	s_or_b64 exec, exec, s[4:5]
	v_lshrrev_b16_e32 v16, 1, v32
	v_and_b32_e32 v16, 0x7f, v16
	v_mul_lo_u16_e32 v16, 0xbb, v16
	v_lshrrev_b32_e32 v29, 20, v15
	v_lshrrev_b16_e32 v27, 11, v16
	v_mul_lo_u16_e32 v15, 22, v29
	v_mul_lo_u16_e32 v16, 22, v27
	v_sub_u16_e32 v30, v8, v15
	v_lshrrev_b32_e32 v43, 20, v9
	v_sub_u16_e32 v16, v32, v16
	v_lshlrev_b16_e32 v15, 3, v30
	v_mul_lo_u16_e32 v9, 22, v43
	v_and_b32_e32 v28, 0xff, v16
	v_mov_b32_e32 v25, s15
	v_add_co_u32_e32 v19, vcc, s14, v15
	v_sub_u16_e32 v45, v6, v9
	v_lshlrev_b32_e32 v24, 3, v28
	v_addc_co_u32_e32 v20, vcc, 0, v25, vcc
	v_lshlrev_b16_e32 v9, 3, v45
	global_load_dwordx2 v[17:18], v24, s[14:15] offset:44
	global_load_dwordx2 v[15:16], v[19:20], off offset:44
	v_add_co_u32_e32 v19, vcc, s14, v9
	v_addc_co_u32_e32 v20, vcc, 0, v25, vcc
	global_load_dwordx2 v[19:20], v[19:20], off offset:44
	s_waitcnt lgkmcnt(1)
	v_lshrrev_b32_e32 v24, 16, v2
	v_lshrrev_b32_e32 v41, 16, v3
	s_waitcnt lgkmcnt(0)
	v_lshrrev_b32_e32 v42, 16, v5
	v_lshrrev_b32_e32 v25, 16, v4
	v_lshrrev_b32_e32 v9, 16, v0
	v_lshrrev_b32_e32 v26, 16, v1
	s_movk_i32 s4, 0x3aee
	s_mov_b32 s5, 0xbaee
	s_movk_i32 s16, 0x42
	s_waitcnt vmcnt(0)
	s_barrier
	v_mul_f16_sdwa v49, v24, v17 dst_sel:DWORD dst_unused:UNUSED_PAD src0_sel:DWORD src1_sel:WORD_1
	v_mul_f16_sdwa v50, v2, v17 dst_sel:DWORD dst_unused:UNUSED_PAD src0_sel:DWORD src1_sel:WORD_1
	;; [unrolled: 1-line block ×10, first 2 shown]
	v_fma_f16 v2, v2, v17, -v49
	v_fma_f16 v24, v24, v17, v50
	v_fma_f16 v25, v25, v18, v52
	v_fma_f16 v3, v3, v15, -v53
	v_fma_f16 v41, v41, v15, v54
	v_fma_f16 v5, v5, v16, -v55
	v_fma_f16 v42, v42, v16, v56
	v_mul_f16_sdwa v58, v22, v19 dst_sel:DWORD dst_unused:UNUSED_PAD src0_sel:DWORD src1_sel:WORD_1
	v_mul_f16_sdwa v60, v12, v20 dst_sel:DWORD dst_unused:UNUSED_PAD src0_sel:DWORD src1_sel:WORD_1
	v_fma_f16 v4, v4, v18, -v51
	v_fma_f16 v49, v22, v19, -v57
	;; [unrolled: 1-line block ×3, first 2 shown]
	v_add_f16_e32 v12, v0, v2
	v_sub_f16_e32 v22, v24, v25
	v_add_f16_e32 v52, v9, v24
	v_add_f16_e32 v24, v24, v25
	;; [unrolled: 1-line block ×3, first 2 shown]
	v_sub_f16_e32 v55, v41, v42
	v_add_f16_e32 v56, v26, v41
	v_add_f16_e32 v41, v41, v42
	v_fma_f16 v23, v23, v19, v58
	v_fma_f16 v51, v13, v20, v60
	v_add_f16_e32 v13, v2, v4
	v_sub_f16_e32 v2, v2, v4
	v_add_f16_e32 v53, v1, v3
	v_sub_f16_e32 v3, v3, v5
	v_add_f16_e32 v58, v49, v50
	v_add_f16_e32 v4, v12, v4
	v_fma_f16 v9, v24, -0.5, v9
	v_fma_f16 v1, v54, -0.5, v1
	;; [unrolled: 1-line block ×3, first 2 shown]
	v_sub_f16_e32 v59, v23, v51
	v_fma_f16 v0, v13, -0.5, v0
	v_add_f16_e32 v5, v53, v5
	v_fma_f16 v24, v58, -0.5, v21
	v_fma_f16 v53, v2, s5, v9
	v_fma_f16 v2, v2, s4, v9
	;; [unrolled: 1-line block ×6, first 2 shown]
	v_add_f16_e32 v3, v7, v23
	v_add_f16_e32 v57, v21, v49
	v_fma_f16 v41, v22, s4, v0
	v_fma_f16 v0, v22, s5, v0
	;; [unrolled: 1-line block ×4, first 2 shown]
	v_add_f16_e32 v24, v3, v51
	v_add_f16_e32 v3, v23, v51
	v_fma_f16 v3, v3, -0.5, v7
	v_sub_f16_e32 v7, v49, v50
	v_add_f16_e32 v52, v52, v25
	v_fma_f16 v26, v7, s5, v3
	v_fma_f16 v25, v7, s4, v3
	v_mul_u32_u24_e32 v3, 0x42, v27
	v_add_lshl_u32 v49, v3, v28, 2
	v_pack_b32_f16 v0, v0, v2
	v_add_f16_e32 v42, v56, v42
	ds_write_b32 v49, v0 offset:176
	v_mad_legacy_u16 v0, v29, s16, v30
	v_add_f16_e32 v13, v57, v50
	v_pack_b32_f16 v3, v4, v52
	v_pack_b32_f16 v4, v41, v53
	v_lshlrev_b32_e32 v50, 2, v0
	v_pack_b32_f16 v0, v5, v42
	v_pack_b32_f16 v1, v54, v1
	ds_write2_b32 v49, v3, v4 offset1:22
	ds_write2_b32 v50, v0, v1 offset1:22
	v_pack_b32_f16 v0, v9, v12
	ds_write_b32 v50, v0 offset:176
	s_and_saveexec_b64 s[4:5], s[2:3]
	s_cbranch_execz .LBB0_11
; %bb.10:
	v_mul_u32_u24_e32 v0, 0xba2f, v6
	v_lshrrev_b32_e32 v0, 20, v0
	v_mad_legacy_u16 v0, v0, s16, v45
	s_mov_b32 s16, 0x5040100
	v_lshlrev_b32_e32 v0, 2, v0
	v_perm_b32 v1, v24, v13, s16
	v_perm_b32 v2, v26, v21, s16
	ds_write2_b32 v0, v1, v2 offset1:22
	v_perm_b32 v1, v25, v22, s16
	ds_write_b32 v0, v1 offset:176
.LBB0_11:
	s_or_b64 exec, exec, s[4:5]
	s_waitcnt lgkmcnt(0)
	s_barrier
	ds_read_b32 v23, v33
	ds_read_b32 v30, v33 offset:1056
	ds_read_b32 v29, v33 offset:2112
	;; [unrolled: 1-line block ×4, first 2 shown]
	s_movk_i32 s4, 0x63
	v_cmp_gt_u16_e64 s[4:5], s4, v32
	s_and_saveexec_b64 s[16:17], s[4:5]
	s_cbranch_execz .LBB0_13
; %bb.12:
	ds_read_b32 v9, v33 offset:660
	ds_read_b32 v13, v33 offset:1716
	;; [unrolled: 1-line block ×5, first 2 shown]
	s_waitcnt lgkmcnt(4)
	v_lshrrev_b32_e32 v12, 16, v9
	s_waitcnt lgkmcnt(3)
	v_lshrrev_b32_e32 v24, 16, v13
	;; [unrolled: 2-line block ×5, first 2 shown]
.LBB0_13:
	s_or_b64 exec, exec, s[16:17]
	s_movk_i32 s16, 0xf9
	v_mul_lo_u16_sdwa v0, v32, s16 dst_sel:DWORD dst_unused:UNUSED_PAD src0_sel:BYTE_0 src1_sel:DWORD
	v_lshrrev_b16_e32 v51, 14, v0
	v_mul_lo_u16_e32 v0, 0x42, v51
	v_sub_u16_e32 v0, v32, v0
	v_and_b32_e32 v62, 0xff, v0
	v_lshlrev_b32_e32 v0, 4, v62
	global_load_dwordx4 v[4:7], v0, s[14:15] offset:220
	v_mul_u32_u24_e32 v0, 0xf83f, v8
	v_lshrrev_b32_e32 v41, 22, v0
	v_mul_lo_u16_e32 v0, 0x42, v41
	v_sub_u16_e32 v42, v8, v0
	v_lshlrev_b16_e32 v0, 4, v42
	v_mov_b32_e32 v1, s15
	v_add_co_u32_e32 v0, vcc, s14, v0
	v_addc_co_u32_e32 v1, vcc, 0, v1, vcc
	global_load_dwordx4 v[0:3], v[0:1], off offset:220
	s_waitcnt lgkmcnt(3)
	v_lshrrev_b32_e32 v8, 16, v30
	s_waitcnt lgkmcnt(2)
	v_lshrrev_b32_e32 v53, 16, v29
	;; [unrolled: 2-line block ×4, first 2 shown]
	v_lshrrev_b32_e32 v52, 16, v23
	s_movk_i32 s16, 0x3b9c
	s_mov_b32 s19, 0xbb9c
	s_movk_i32 s17, 0x38b4
	s_mov_b32 s20, 0xb8b4
	s_movk_i32 s18, 0x34f2
	v_mul_u32_u24_e32 v51, 0x14a, v51
	v_add_lshl_u32 v51, v51, v62, 2
	s_waitcnt vmcnt(0)
	s_barrier
	v_mul_f16_sdwa v56, v8, v4 dst_sel:DWORD dst_unused:UNUSED_PAD src0_sel:DWORD src1_sel:WORD_1
	v_mul_f16_sdwa v58, v53, v5 dst_sel:DWORD dst_unused:UNUSED_PAD src0_sel:DWORD src1_sel:WORD_1
	;; [unrolled: 1-line block ×8, first 2 shown]
	v_fma_f16 v30, v30, v4, -v56
	v_fma_f16 v29, v29, v5, -v58
	;; [unrolled: 1-line block ×3, first 2 shown]
	v_mul_f16_sdwa v65, v24, v0 dst_sel:DWORD dst_unused:UNUSED_PAD src0_sel:DWORD src1_sel:WORD_1
	v_mul_f16_sdwa v66, v13, v0 dst_sel:DWORD dst_unused:UNUSED_PAD src0_sel:DWORD src1_sel:WORD_1
	;; [unrolled: 1-line block ×6, first 2 shown]
	v_fma_f16 v56, v8, v4, v57
	v_fma_f16 v57, v27, v7, -v63
	v_fma_f16 v55, v55, v7, v64
	v_fma_f16 v8, v13, v0, -v65
	;; [unrolled: 2-line block ×3, first 2 shown]
	v_fma_f16 v24, v22, v2, -v69
	v_add_f16_e32 v21, v23, v30
	v_add_f16_e32 v22, v29, v28
	v_fma_f16 v53, v53, v5, v59
	v_fma_f16 v54, v54, v6, v61
	v_sub_f16_e32 v58, v56, v55
	v_sub_f16_e32 v60, v30, v29
	;; [unrolled: 1-line block ×3, first 2 shown]
	v_add_f16_e32 v63, v30, v57
	v_sub_f16_e32 v64, v29, v30
	v_sub_f16_e32 v65, v28, v57
	v_add_f16_e32 v21, v21, v29
	v_fma_f16 v22, v22, -0.5, v23
	v_sub_f16_e32 v59, v53, v54
	v_add_f16_e32 v66, v52, v56
	v_add_f16_e32 v60, v60, v61
	v_fma_f16 v23, v63, -0.5, v23
	v_add_f16_e32 v61, v64, v65
	v_add_f16_e32 v21, v21, v28
	v_fma_f16 v64, v58, s16, v22
	v_fma_f16 v22, v58, s19, v22
	v_add_f16_e32 v67, v53, v54
	v_add_f16_e32 v63, v66, v53
	v_fma_f16 v65, v59, s19, v23
	v_fma_f16 v23, v59, s16, v23
	v_add_f16_e32 v66, v21, v57
	v_fma_f16 v21, v59, s17, v64
	v_fma_f16 v22, v59, s20, v22
	;; [unrolled: 1-line block ×6, first 2 shown]
	v_fma_f16 v21, v67, -0.5, v52
	v_sub_f16_e32 v22, v30, v57
	v_fma_f16 v69, v61, s18, v23
	v_fma_f16 v23, v22, s19, v21
	v_sub_f16_e32 v28, v29, v28
	v_sub_f16_e32 v29, v56, v53
	;; [unrolled: 1-line block ×3, first 2 shown]
	v_fma_f16 v21, v22, s16, v21
	v_add_f16_e32 v29, v29, v30
	v_fma_f16 v21, v28, s17, v21
	v_fma_f16 v25, v25, v2, v70
	;; [unrolled: 1-line block ×3, first 2 shown]
	v_add_f16_e32 v21, v56, v55
	v_fma_f16 v23, v28, s20, v23
	v_fma_f16 v21, v21, -0.5, v52
	v_fma_f16 v67, v29, s18, v23
	v_fma_f16 v23, v28, s16, v21
	v_sub_f16_e32 v29, v53, v56
	v_sub_f16_e32 v30, v54, v55
	v_fma_f16 v21, v28, s19, v21
	v_mul_f16_sdwa v71, v10, v3 dst_sel:DWORD dst_unused:UNUSED_PAD src0_sel:DWORD src1_sel:WORD_1
	v_mul_f16_sdwa v72, v11, v3 dst_sel:DWORD dst_unused:UNUSED_PAD src0_sel:DWORD src1_sel:WORD_1
	v_add_f16_e32 v29, v29, v30
	v_fma_f16 v21, v22, s17, v21
	v_fma_f16 v11, v11, v3, -v71
	v_fma_f16 v10, v10, v3, v72
	v_fma_f16 v23, v22, s20, v23
	;; [unrolled: 1-line block ×3, first 2 shown]
	v_add_f16_e32 v21, v13, v24
	v_fma_f16 v26, v26, v1, v68
	v_add_f16_e32 v63, v63, v54
	v_fma_f16 v71, v29, s18, v23
	v_fma_f16 v23, v21, -0.5, v9
	v_sub_f16_e32 v29, v27, v10
	v_sub_f16_e32 v21, v8, v13
	;; [unrolled: 1-line block ×3, first 2 shown]
	v_add_f16_e32 v63, v63, v55
	v_sub_f16_e32 v30, v26, v25
	v_add_f16_e32 v55, v21, v22
	v_fma_f16 v21, v29, s19, v23
	v_fma_f16 v21, v30, s20, v21
	;; [unrolled: 1-line block ×3, first 2 shown]
	v_add_f16_e32 v21, v8, v11
	v_fma_f16 v28, v21, -0.5, v9
	v_sub_f16_e32 v21, v13, v8
	v_sub_f16_e32 v52, v24, v11
	v_add_f16_e32 v56, v21, v52
	v_add_f16_e32 v52, v26, v25
	v_fma_f16 v54, v52, -0.5, v12
	v_sub_f16_e32 v52, v27, v26
	v_sub_f16_e32 v53, v10, v25
	v_fma_f16 v68, v61, s18, v59
	v_add_f16_e32 v59, v52, v53
	v_add_f16_e32 v53, v27, v10
	v_sub_f16_e32 v57, v8, v11
	v_sub_f16_e32 v58, v13, v24
	v_fma_f16 v60, v53, -0.5, v12
	v_sub_f16_e32 v53, v26, v27
	v_sub_f16_e32 v61, v25, v10
	v_fma_f16 v21, v30, s16, v28
	v_fma_f16 v52, v57, s16, v54
	v_add_f16_e32 v61, v53, v61
	v_fma_f16 v53, v58, s19, v60
	v_pack_b32_f16 v62, v66, v63
	v_pack_b32_f16 v63, v64, v67
	v_fma_f16 v21, v29, s20, v21
	v_fma_f16 v52, v58, s17, v52
	;; [unrolled: 1-line block ×3, first 2 shown]
	ds_write2_b32 v51, v62, v63 offset1:66
	v_pack_b32_f16 v62, v68, v71
	v_pack_b32_f16 v63, v69, v72
	v_fma_f16 v21, v56, s18, v21
	v_fma_f16 v52, v59, s18, v52
	;; [unrolled: 1-line block ×3, first 2 shown]
	s_movk_i32 s18, 0x14a
	ds_write2_b32 v51, v62, v63 offset0:132 offset1:198
	v_pack_b32_f16 v62, v65, v70
	ds_write_b32 v51, v62 offset:1056
	s_and_saveexec_b64 s[16:17], s[4:5]
	s_cbranch_execz .LBB0_15
; %bb.14:
	v_mul_f16_e32 v63, 0x38b4, v30
	v_mul_f16_e32 v30, 0x3b9c, v30
	;; [unrolled: 1-line block ×5, first 2 shown]
	v_sub_f16_e32 v28, v28, v30
	v_add_f16_e32 v12, v12, v27
	v_add_f16_e32 v8, v9, v8
	v_mul_f16_e32 v65, 0x38b4, v58
	v_mul_f16_e32 v58, 0x3b9c, v58
	v_add_f16_e32 v28, v29, v28
	v_sub_f16_e32 v29, v54, v64
	v_add_f16_e32 v23, v23, v62
	v_add_f16_e32 v12, v12, v26
	;; [unrolled: 1-line block ×3, first 2 shown]
	v_mul_f16_e32 v55, 0x34f2, v55
	v_mul_f16_e32 v59, 0x34f2, v59
	;; [unrolled: 1-line block ×3, first 2 shown]
	v_add_f16_e32 v58, v58, v60
	v_sub_f16_e32 v29, v29, v65
	v_add_f16_e32 v23, v63, v23
	v_add_f16_e32 v12, v12, v25
	;; [unrolled: 1-line block ×3, first 2 shown]
	v_mul_f16_e32 v56, 0x34f2, v56
	v_mul_f16_e32 v61, 0x34f2, v61
	v_sub_f16_e32 v57, v58, v57
	v_add_f16_e32 v29, v59, v29
	v_add_f16_e32 v23, v55, v23
	;; [unrolled: 1-line block ×4, first 2 shown]
	v_mad_legacy_u16 v9, v41, s18, v42
	v_add_f16_e32 v57, v61, v57
	v_add_f16_e32 v28, v56, v28
	v_lshlrev_b32_e32 v9, 2, v9
	v_pack_b32_f16 v8, v8, v10
	v_pack_b32_f16 v10, v23, v29
	s_mov_b32 s18, 0x5040100
	ds_write2_b32 v9, v8, v10 offset1:66
	v_pack_b32_f16 v8, v28, v57
	v_perm_b32 v10, v53, v21, s18
	ds_write2_b32 v9, v8, v10 offset0:132 offset1:198
	v_perm_b32 v8, v52, v22, s18
	ds_write_b32 v9, v8 offset:1056
.LBB0_15:
	s_or_b64 exec, exec, s[16:17]
	v_mad_u64_u32 v[23:24], s[14:15], v32, 12, s[14:15]
	s_waitcnt lgkmcnt(0)
	s_barrier
	global_load_dwordx3 v[8:10], v[23:24], off offset:1276
	global_load_dwordx3 v[11:13], v[23:24], off offset:3256
	v_add_u32_e32 v62, 0x400, v33
	ds_read2_b32 v[23:24], v33 offset1:165
	v_add_u32_e32 v63, 0xa00, v33
	v_add_u32_e32 v64, 0xf00, v33
	ds_read2_b32 v[25:26], v62 offset0:74 offset1:239
	ds_read2_b32 v[27:28], v63 offset0:20 offset1:185
	;; [unrolled: 1-line block ×3, first 2 shown]
	s_waitcnt lgkmcnt(3)
	v_lshrrev_b32_e32 v54, 16, v23
	s_waitcnt lgkmcnt(2)
	v_lshrrev_b32_e32 v56, 16, v25
	;; [unrolled: 2-line block ×4, first 2 shown]
	v_lshrrev_b32_e32 v59, 16, v26
	v_lshrrev_b32_e32 v60, 16, v28
	;; [unrolled: 1-line block ×4, first 2 shown]
	s_waitcnt vmcnt(1)
	v_mul_f16_sdwa v65, v56, v8 dst_sel:DWORD dst_unused:UNUSED_PAD src0_sel:DWORD src1_sel:WORD_1
	v_mul_f16_sdwa v66, v25, v8 dst_sel:DWORD dst_unused:UNUSED_PAD src0_sel:DWORD src1_sel:WORD_1
	;; [unrolled: 1-line block ×6, first 2 shown]
	s_waitcnt vmcnt(0)
	v_mul_f16_sdwa v71, v59, v11 dst_sel:DWORD dst_unused:UNUSED_PAD src0_sel:DWORD src1_sel:WORD_1
	v_mul_f16_sdwa v72, v26, v11 dst_sel:DWORD dst_unused:UNUSED_PAD src0_sel:DWORD src1_sel:WORD_1
	;; [unrolled: 1-line block ×6, first 2 shown]
	v_fma_f16 v25, v25, v8, -v65
	v_fma_f16 v56, v56, v8, v66
	v_fma_f16 v27, v27, v9, -v67
	v_fma_f16 v57, v57, v9, v68
	;; [unrolled: 2-line block ×6, first 2 shown]
	v_sub_f16_e32 v27, v23, v27
	v_sub_f16_e32 v57, v54, v57
	;; [unrolled: 1-line block ×8, first 2 shown]
	v_fma_f16 v23, v23, 2.0, -v27
	v_fma_f16 v60, v54, 2.0, -v57
	v_fma_f16 v25, v25, 2.0, -v29
	v_fma_f16 v56, v56, 2.0, -v58
	v_sub_f16_e32 v26, v27, v58
	v_add_f16_e32 v54, v57, v29
	v_fma_f16 v68, v24, 2.0, -v66
	v_fma_f16 v69, v55, 2.0, -v67
	;; [unrolled: 1-line block ×4, first 2 shown]
	v_sub_f16_e32 v30, v66, v30
	v_add_f16_e32 v58, v67, v28
	v_sub_f16_e32 v25, v23, v25
	v_sub_f16_e32 v55, v60, v56
	v_fma_f16 v24, v27, 2.0, -v26
	v_fma_f16 v56, v57, 2.0, -v54
	v_sub_f16_e32 v29, v68, v29
	v_sub_f16_e32 v61, v69, v59
	v_fma_f16 v28, v66, 2.0, -v30
	v_fma_f16 v59, v67, 2.0, -v58
	v_pack_b32_f16 v65, v26, v54
	v_pack_b32_f16 v66, v30, v58
	v_fma_f16 v23, v23, 2.0, -v25
	v_fma_f16 v57, v60, 2.0, -v55
	;; [unrolled: 1-line block ×4, first 2 shown]
	v_pack_b32_f16 v67, v24, v56
	v_pack_b32_f16 v69, v28, v59
	;; [unrolled: 1-line block ×4, first 2 shown]
	ds_write2_b32 v64, v65, v66 offset0:30 offset1:195
	v_pack_b32_f16 v64, v23, v57
	v_pack_b32_f16 v65, v27, v60
	ds_write2_b32 v62, v67, v69 offset0:74 offset1:239
	ds_write2_b32 v63, v68, v70 offset0:20 offset1:185
	ds_write2_b32 v33, v64, v65 offset1:165
	s_waitcnt lgkmcnt(0)
	s_barrier
	s_and_saveexec_b64 s[14:15], s[0:1]
	s_cbranch_execz .LBB0_17
; %bb.16:
	v_add_co_u32_e32 v66, vcc, s6, v31
	v_mov_b32_e32 v62, s7
	v_addc_co_u32_e32 v67, vcc, 0, v62, vcc
	v_add_co_u32_e32 v62, vcc, 0x14a0, v66
	v_addc_co_u32_e32 v63, vcc, 0, v67, vcc
	v_add_co_u32_e32 v64, vcc, 0x1000, v66
	v_addc_co_u32_e32 v65, vcc, 0, v67, vcc
	global_load_dword v64, v[64:65], off offset:1184
	ds_read_b32 v68, v33
	s_movk_i32 s16, 0x2000
	s_waitcnt lgkmcnt(0)
	v_lshrrev_b32_e32 v69, 16, v68
	s_waitcnt vmcnt(0)
	v_mul_f16_sdwa v65, v69, v64 dst_sel:DWORD dst_unused:UNUSED_PAD src0_sel:DWORD src1_sel:WORD_1
	v_fma_f16 v65, v68, v64, -v65
	v_mul_f16_sdwa v68, v68, v64 dst_sel:DWORD dst_unused:UNUSED_PAD src0_sel:DWORD src1_sel:WORD_1
	v_fma_f16 v64, v69, v64, v68
	global_load_dword v69, v[62:63], off offset:480
	v_pack_b32_f16 v64, v65, v64
	ds_write_b32 v33, v64
	ds_read2_b32 v[64:65], v31 offset0:120 offset1:240
	s_waitcnt lgkmcnt(0)
	v_lshrrev_b32_e32 v68, 16, v64
	s_waitcnt vmcnt(0)
	v_mul_f16_sdwa v70, v68, v69 dst_sel:DWORD dst_unused:UNUSED_PAD src0_sel:DWORD src1_sel:WORD_1
	v_fma_f16 v70, v64, v69, -v70
	v_mul_f16_sdwa v64, v64, v69 dst_sel:DWORD dst_unused:UNUSED_PAD src0_sel:DWORD src1_sel:WORD_1
	v_fma_f16 v64, v68, v69, v64
	global_load_dword v69, v[62:63], off offset:960
	v_lshrrev_b32_e32 v68, 16, v65
	v_pack_b32_f16 v64, v70, v64
	s_waitcnt vmcnt(0)
	v_mul_f16_sdwa v70, v68, v69 dst_sel:DWORD dst_unused:UNUSED_PAD src0_sel:DWORD src1_sel:WORD_1
	v_fma_f16 v70, v65, v69, -v70
	v_mul_f16_sdwa v65, v65, v69 dst_sel:DWORD dst_unused:UNUSED_PAD src0_sel:DWORD src1_sel:WORD_1
	v_fma_f16 v65, v68, v69, v65
	v_pack_b32_f16 v65, v70, v65
	global_load_dword v70, v[62:63], off offset:1440
	v_add_u32_e32 v68, 0x400, v31
	ds_write2_b32 v31, v64, v65 offset0:120 offset1:240
	ds_read2_b32 v[64:65], v68 offset0:104 offset1:224
	s_waitcnt lgkmcnt(0)
	v_lshrrev_b32_e32 v69, 16, v64
	s_waitcnt vmcnt(0)
	v_mul_f16_sdwa v71, v69, v70 dst_sel:DWORD dst_unused:UNUSED_PAD src0_sel:DWORD src1_sel:WORD_1
	v_fma_f16 v71, v64, v70, -v71
	v_mul_f16_sdwa v64, v64, v70 dst_sel:DWORD dst_unused:UNUSED_PAD src0_sel:DWORD src1_sel:WORD_1
	v_fma_f16 v64, v69, v70, v64
	global_load_dword v70, v[62:63], off offset:1920
	v_lshrrev_b32_e32 v69, 16, v65
	v_pack_b32_f16 v64, v71, v64
	s_waitcnt vmcnt(0)
	v_mul_f16_sdwa v71, v69, v70 dst_sel:DWORD dst_unused:UNUSED_PAD src0_sel:DWORD src1_sel:WORD_1
	v_fma_f16 v71, v65, v70, -v71
	v_mul_f16_sdwa v65, v65, v70 dst_sel:DWORD dst_unused:UNUSED_PAD src0_sel:DWORD src1_sel:WORD_1
	v_fma_f16 v65, v69, v70, v65
	global_load_dword v70, v[62:63], off offset:2400
	v_pack_b32_f16 v65, v71, v65
	ds_write2_b32 v68, v64, v65 offset0:104 offset1:224
	v_add_u32_e32 v68, 0x800, v31
	ds_read2_b32 v[64:65], v68 offset0:88 offset1:208
	s_waitcnt lgkmcnt(0)
	v_lshrrev_b32_e32 v69, 16, v64
	s_waitcnt vmcnt(0)
	v_mul_f16_sdwa v71, v69, v70 dst_sel:DWORD dst_unused:UNUSED_PAD src0_sel:DWORD src1_sel:WORD_1
	v_fma_f16 v71, v64, v70, -v71
	v_mul_f16_sdwa v64, v64, v70 dst_sel:DWORD dst_unused:UNUSED_PAD src0_sel:DWORD src1_sel:WORD_1
	v_fma_f16 v64, v69, v70, v64
	global_load_dword v70, v[62:63], off offset:2880
	v_lshrrev_b32_e32 v69, 16, v65
	v_pack_b32_f16 v64, v71, v64
	s_waitcnt vmcnt(0)
	v_mul_f16_sdwa v71, v69, v70 dst_sel:DWORD dst_unused:UNUSED_PAD src0_sel:DWORD src1_sel:WORD_1
	v_fma_f16 v71, v65, v70, -v71
	v_mul_f16_sdwa v65, v65, v70 dst_sel:DWORD dst_unused:UNUSED_PAD src0_sel:DWORD src1_sel:WORD_1
	v_fma_f16 v65, v69, v70, v65
	global_load_dword v70, v[62:63], off offset:3360
	v_pack_b32_f16 v65, v71, v65
	global_load_dword v62, v[62:63], off offset:3840
	ds_write2_b32 v68, v64, v65 offset0:88 offset1:208
	v_add_u32_e32 v68, 0xc00, v31
	ds_read2_b32 v[64:65], v68 offset0:72 offset1:192
	s_waitcnt lgkmcnt(0)
	v_lshrrev_b32_e32 v69, 16, v64
	s_waitcnt vmcnt(1)
	v_mul_f16_sdwa v71, v69, v70 dst_sel:DWORD dst_unused:UNUSED_PAD src0_sel:DWORD src1_sel:WORD_1
	v_fma_f16 v71, v64, v70, -v71
	v_mul_f16_sdwa v64, v64, v70 dst_sel:DWORD dst_unused:UNUSED_PAD src0_sel:DWORD src1_sel:WORD_1
	v_fma_f16 v64, v69, v70, v64
	v_lshrrev_b32_e32 v69, 16, v65
	s_waitcnt vmcnt(0)
	v_mul_f16_sdwa v63, v69, v62 dst_sel:DWORD dst_unused:UNUSED_PAD src0_sel:DWORD src1_sel:WORD_1
	v_fma_f16 v63, v65, v62, -v63
	v_mul_f16_sdwa v65, v65, v62 dst_sel:DWORD dst_unused:UNUSED_PAD src0_sel:DWORD src1_sel:WORD_1
	v_fma_f16 v62, v69, v62, v65
	v_pack_b32_f16 v64, v71, v64
	v_pack_b32_f16 v62, v63, v62
	ds_write2_b32 v68, v64, v62 offset0:72 offset1:192
	v_add_co_u32_e32 v64, vcc, s16, v66
	v_addc_co_u32_e32 v65, vcc, 0, v67, vcc
	global_load_dword v66, v[64:65], off offset:1408
	v_add_u32_e32 v68, 0x1000, v31
	global_load_dword v64, v[64:65], off offset:1888
	ds_read2_b32 v[62:63], v68 offset0:56 offset1:176
	s_waitcnt lgkmcnt(0)
	v_lshrrev_b32_e32 v69, 16, v62
	s_waitcnt vmcnt(1)
	v_mul_f16_sdwa v67, v69, v66 dst_sel:DWORD dst_unused:UNUSED_PAD src0_sel:DWORD src1_sel:WORD_1
	v_fma_f16 v67, v62, v66, -v67
	v_mul_f16_sdwa v62, v62, v66 dst_sel:DWORD dst_unused:UNUSED_PAD src0_sel:DWORD src1_sel:WORD_1
	v_fma_f16 v62, v69, v66, v62
	v_lshrrev_b32_e32 v66, 16, v63
	s_waitcnt vmcnt(0)
	v_mul_f16_sdwa v65, v66, v64 dst_sel:DWORD dst_unused:UNUSED_PAD src0_sel:DWORD src1_sel:WORD_1
	v_fma_f16 v65, v63, v64, -v65
	v_mul_f16_sdwa v63, v63, v64 dst_sel:DWORD dst_unused:UNUSED_PAD src0_sel:DWORD src1_sel:WORD_1
	v_fma_f16 v63, v66, v64, v63
	v_pack_b32_f16 v62, v67, v62
	v_pack_b32_f16 v63, v65, v63
	ds_write2_b32 v68, v62, v63 offset0:56 offset1:176
.LBB0_17:
	s_or_b64 exec, exec, s[14:15]
	s_waitcnt lgkmcnt(0)
	s_barrier
	s_and_saveexec_b64 s[14:15], s[0:1]
	s_cbranch_execz .LBB0_19
; %bb.18:
	v_add_u32_e32 v21, 0x200, v33
	ds_read2_b32 v[25:26], v21 offset0:112 offset1:232
	v_add_u32_e32 v21, 0x600, v33
	ds_read2_b32 v[27:28], v21 offset0:96 offset1:216
	;; [unrolled: 2-line block ×3, first 2 shown]
	v_add_u32_e32 v21, 0xe00, v33
	ds_read2_b32 v[23:24], v33 offset1:120
	ds_read2_b32 v[21:22], v21 offset0:64 offset1:184
	ds_read_b32 v35, v33 offset:4800
	s_waitcnt lgkmcnt(5)
	v_lshrrev_b32_e32 v55, 16, v25
	v_lshrrev_b32_e32 v54, 16, v26
	s_waitcnt lgkmcnt(2)
	v_lshrrev_b32_e32 v57, 16, v23
	v_lshrrev_b32_e32 v56, 16, v24
	;; [unrolled: 1-line block ×6, first 2 shown]
	s_waitcnt lgkmcnt(1)
	v_lshrrev_b32_e32 v53, 16, v21
	v_lshrrev_b32_e32 v52, 16, v22
	s_waitcnt lgkmcnt(0)
	v_lshrrev_b32_e32 v36, 16, v35
.LBB0_19:
	s_or_b64 exec, exec, s[14:15]
	v_sub_f16_e32 v71, v56, v36
	v_add_f16_e32 v66, v35, v24
	v_add_f16_e32 v74, v36, v56
	s_movk_i32 s16, 0x36a6
	v_mul_f16_e32 v78, 0xbb47, v71
	v_sub_f16_e32 v76, v55, v52
	v_sub_f16_e32 v67, v24, v35
	s_mov_b32 s18, 0xbb47
	v_mul_f16_e32 v82, 0x36a6, v74
	v_fma_f16 v62, v66, s16, -v78
	v_add_f16_e32 v68, v22, v25
	v_add_f16_e32 v79, v52, v55
	s_mov_b32 s19, 0xb93d
	v_mul_f16_e32 v83, 0xba0c, v76
	v_add_f16_e32 v62, v23, v62
	v_fma_f16 v63, v67, s18, v82
	s_mov_b32 s17, 0xb08e
	v_mul_f16_e32 v86, 0xbbeb, v71
	v_sub_f16_e32 v69, v25, v22
	s_mov_b32 s22, 0xba0c
	v_mul_f16_e32 v87, 0xb93d, v79
	v_fma_f16 v70, v68, s19, -v83
	v_add_f16_e32 v63, v57, v63
	s_mov_b32 s20, 0xbbeb
	v_mul_f16_e32 v91, 0xb08e, v74
	v_fma_f16 v64, v66, s17, -v86
	v_add_f16_e32 v62, v70, v62
	v_fma_f16 v70, v69, s22, v87
	s_mov_b32 s21, 0xbbad
	v_mul_f16_e32 v93, 0x3482, v76
	v_add_f16_e32 v64, v23, v64
	v_fma_f16 v65, v67, s20, v91
	v_add_f16_e32 v63, v70, v63
	s_movk_i32 s25, 0x3482
	v_mul_f16_e32 v96, 0xbbad, v79
	v_fma_f16 v70, v68, s21, -v93
	v_add_f16_e32 v65, v57, v65
	v_add_f16_e32 v64, v70, v64
	v_fma_f16 v70, v69, s25, v96
	v_sub_f16_e32 v81, v54, v53
	v_add_f16_e32 v65, v70, v65
	v_add_f16_e32 v70, v21, v26
	;; [unrolled: 1-line block ×3, first 2 shown]
	v_mul_f16_e32 v89, 0x3482, v81
	v_sub_f16_e32 v72, v26, v21
	v_mul_f16_e32 v92, 0xbbad, v84
	v_fma_f16 v73, v70, s21, -v89
	v_add_f16_e32 v62, v73, v62
	v_fma_f16 v73, v72, s25, v92
	v_mul_f16_e32 v97, 0x3b47, v81
	v_add_f16_e32 v63, v73, v63
	s_movk_i32 s26, 0x3b47
	v_mul_f16_e32 v100, 0x36a6, v84
	v_fma_f16 v73, v70, s16, -v97
	v_add_f16_e32 v64, v73, v64
	v_fma_f16 v73, v72, s26, v100
	v_sub_f16_e32 v85, v60, v58
	v_add_f16_e32 v65, v73, v65
	v_add_f16_e32 v73, v30, v27
	v_add_f16_e32 v88, v58, v60
	v_mul_f16_e32 v95, 0x3beb, v85
	v_sub_f16_e32 v75, v27, v30
	s_movk_i32 s27, 0x3beb
	v_mul_f16_e32 v98, 0xb08e, v88
	v_fma_f16 v77, v73, s17, -v95
	v_add_f16_e32 v62, v77, v62
	v_fma_f16 v77, v75, s27, v98
	s_movk_i32 s23, 0x3abb
	v_mul_f16_e32 v101, 0xb853, v85
	v_add_f16_e32 v63, v77, v63
	s_mov_b32 s24, 0xb853
	v_mul_f16_e32 v103, 0x3abb, v88
	v_fma_f16 v77, v73, s23, -v101
	v_add_f16_e32 v64, v77, v64
	v_fma_f16 v77, v75, s24, v103
	v_sub_f16_e32 v90, v59, v61
	v_add_f16_e32 v65, v77, v65
	v_add_f16_e32 v77, v29, v28
	;; [unrolled: 1-line block ×3, first 2 shown]
	v_mul_f16_e32 v99, 0x3853, v90
	v_sub_f16_e32 v80, v28, v29
	s_movk_i32 s28, 0x3853
	v_mul_f16_e32 v102, 0x3abb, v94
	v_fma_f16 v104, v77, s23, -v99
	v_add_f16_e32 v62, v104, v62
	v_fma_f16 v104, v80, s28, v102
	v_add_f16_e32 v63, v104, v63
	v_mul_f16_e32 v104, 0xba0c, v90
	v_mul_f16_e32 v105, 0xb93d, v94
	v_fma_f16 v106, v77, s19, -v104
	v_add_f16_e32 v64, v106, v64
	v_fma_f16 v106, v80, s22, v105
	v_add_f16_e32 v65, v106, v65
	s_barrier
	s_and_saveexec_b64 s[14:15], s[0:1]
	s_cbranch_execz .LBB0_21
; %bb.20:
	v_mul_f16_e32 v126, 0xba0c, v67
	v_fma_f16 v127, v74, s19, v126
	v_mul_f16_e32 v128, 0x3beb, v69
	v_add_f16_e32 v127, v57, v127
	v_fma_f16 v129, v79, s17, v128
	v_add_f16_e32 v127, v129, v127
	v_mul_f16_e32 v129, 0xb853, v72
	v_fma_f16 v130, v84, s23, v129
	v_add_f16_e32 v127, v130, v127
	v_mul_f16_e32 v130, 0xb482, v75
	;; [unrolled: 3-line block ×4, first 2 shown]
	v_fma_f16 v133, v66, s19, -v132
	v_mul_f16_e32 v134, 0x3beb, v76
	v_add_f16_e32 v133, v23, v133
	v_fma_f16 v135, v68, s17, -v134
	v_add_f16_e32 v133, v135, v133
	v_mul_f16_e32 v135, 0xb853, v81
	v_fma_f16 v136, v70, s23, -v135
	v_add_f16_e32 v133, v136, v133
	v_mul_f16_e32 v136, 0xb482, v85
	;; [unrolled: 3-line block ×3, first 2 shown]
	v_fma_f16 v138, v77, s16, -v137
	v_mul_f16_e32 v106, 0x36a6, v66
	v_add_f16_e32 v133, v138, v133
	v_mul_f16_e32 v138, 0xb482, v67
	v_mul_f16_e32 v107, 0xbb47, v67
	;; [unrolled: 1-line block ×3, first 2 shown]
	v_fma_f16 v139, v74, s21, v138
	v_mul_f16_e32 v140, 0x3853, v69
	v_add_f16_e32 v78, v106, v78
	v_add_f16_e32 v24, v24, v23
	v_mul_f16_e32 v111, 0xba0c, v69
	v_mul_f16_e32 v114, 0xbbad, v70
	v_add_f16_e32 v139, v57, v139
	v_fma_f16 v141, v79, s23, v140
	v_sub_f16_e32 v82, v82, v107
	v_add_f16_e32 v78, v23, v78
	v_add_f16_e32 v83, v110, v83
	;; [unrolled: 1-line block ×3, first 2 shown]
	v_mul_f16_e32 v115, 0x3482, v72
	v_mul_f16_e32 v118, 0xb08e, v73
	v_add_f16_e32 v139, v141, v139
	v_mul_f16_e32 v141, 0xba0c, v72
	v_add_f16_e32 v82, v57, v82
	v_sub_f16_e32 v87, v87, v111
	v_add_f16_e32 v78, v83, v78
	v_add_f16_e32 v83, v114, v89
	;; [unrolled: 1-line block ×3, first 2 shown]
	v_mul_f16_e32 v119, 0x3beb, v75
	v_mul_f16_e32 v122, 0x3abb, v77
	v_fma_f16 v142, v84, s19, v141
	v_add_f16_e32 v82, v87, v82
	v_sub_f16_e32 v87, v92, v115
	v_add_f16_e32 v78, v83, v78
	v_add_f16_e32 v83, v118, v95
	;; [unrolled: 1-line block ×3, first 2 shown]
	v_mul_f16_e32 v123, 0x3853, v80
	v_add_f16_e32 v139, v142, v139
	v_mul_f16_e32 v142, 0x3b47, v75
	v_fma_f16 v138, v74, s21, -v138
	v_fma_f16 v126, v74, s19, -v126
	v_add_f16_e32 v82, v87, v82
	v_sub_f16_e32 v87, v98, v119
	v_add_f16_e32 v78, v83, v78
	v_add_f16_e32 v83, v122, v99
	v_mul_f16_e32 v74, 0x3abb, v74
	v_add_f16_e32 v24, v28, v24
	v_fma_f16 v143, v88, s16, v142
	v_add_f16_e32 v138, v57, v138
	v_fma_f16 v140, v79, s23, -v140
	v_add_f16_e32 v126, v57, v126
	v_fma_f16 v128, v79, s17, -v128
	v_add_f16_e32 v82, v87, v82
	v_sub_f16_e32 v87, v102, v123
	v_add_f16_e32 v78, v83, v78
	v_fma_f16 v83, v67, s28, v74
	v_mul_f16_e32 v79, 0x36a6, v79
	v_add_f16_e32 v24, v29, v24
	v_add_f16_e32 v139, v143, v139
	v_mul_f16_e32 v143, 0xbbeb, v80
	v_add_f16_e32 v138, v140, v138
	v_fma_f16 v140, v84, s19, -v141
	v_add_f16_e32 v126, v128, v126
	v_fma_f16 v128, v84, s23, -v129
	v_add_f16_e32 v82, v87, v82
	v_add_f16_e32 v83, v57, v83
	v_fma_f16 v87, v69, s26, v79
	v_mul_f16_e32 v84, 0xb08e, v84
	v_add_f16_e32 v24, v30, v24
	v_fma_f16 v144, v94, s17, v143
	v_add_f16_e32 v83, v87, v83
	v_fma_f16 v87, v72, s27, v84
	v_add_f16_e32 v21, v21, v24
	v_add_f16_e32 v139, v144, v139
	v_mul_f16_e32 v144, 0xb482, v71
	v_add_f16_e32 v83, v87, v83
	v_mul_f16_e32 v87, 0xb93d, v88
	s_movk_i32 s26, 0x3a0c
	v_add_f16_e32 v21, v22, v21
	v_add_f16_e32 v22, v56, v57
	v_fma_f16 v24, v67, s24, v74
	v_fma_f16 v145, v66, s21, -v144
	v_mul_f16_e32 v146, 0x3853, v76
	v_add_f16_e32 v138, v140, v138
	v_fma_f16 v140, v88, s16, -v142
	v_add_f16_e32 v126, v128, v126
	v_fma_f16 v128, v88, s21, -v130
	v_fma_f16 v88, v75, s26, v87
	v_add_f16_e32 v22, v55, v22
	v_add_f16_e32 v24, v57, v24
	v_fma_f16 v25, v69, s18, v79
	v_add_f16_e32 v145, v23, v145
	v_fma_f16 v147, v68, s23, -v146
	v_add_f16_e32 v83, v88, v83
	v_mul_f16_e32 v88, 0xbbad, v94
	v_add_f16_e32 v22, v54, v22
	v_add_f16_e32 v24, v25, v24
	v_fma_f16 v25, v72, s20, v84
	s_mov_b32 s29, 0xb482
	v_add_f16_e32 v145, v147, v145
	v_mul_f16_e32 v147, 0xba0c, v81
	v_fma_f16 v89, v80, s25, v88
	v_mul_f16_e32 v71, 0xb853, v71
	v_add_f16_e32 v22, v60, v22
	v_add_f16_e32 v24, v25, v24
	v_fma_f16 v25, v75, s22, v87
	v_mul_f16_e32 v108, 0xb08e, v66
	v_mul_f16_e32 v109, 0xbbeb, v67
	v_fma_f16 v148, v70, s19, -v147
	v_add_f16_e32 v138, v140, v138
	v_fma_f16 v140, v94, s17, -v143
	v_add_f16_e32 v126, v128, v126
	;; [unrolled: 2-line block ×3, first 2 shown]
	v_fma_f16 v89, v66, s23, v71
	v_mul_f16_e32 v76, 0xbb47, v76
	v_add_f16_e32 v22, v59, v22
	v_add_f16_e32 v24, v25, v24
	v_fma_f16 v25, v80, s29, v88
	v_mul_f16_e32 v112, 0xbbad, v68
	v_mul_f16_e32 v113, 0x3482, v69
	v_add_f16_e32 v145, v148, v145
	v_mul_f16_e32 v148, 0x3b47, v85
	v_add_f16_e32 v138, v140, v138
	v_fma_f16 v140, v66, s21, v144
	v_add_f16_e32 v126, v128, v126
	v_fma_f16 v128, v66, s19, v132
	v_sub_f16_e32 v91, v91, v109
	v_add_f16_e32 v86, v108, v86
	v_add_f16_e32 v89, v23, v89
	v_fma_f16 v92, v68, s16, v76
	v_mul_f16_e32 v81, 0xbbeb, v81
	v_add_f16_e32 v22, v61, v22
	v_add_f16_e32 v24, v25, v24
	v_fma_f16 v25, v66, s23, -v71
	v_mul_f16_e32 v116, 0x36a6, v70
	v_mul_f16_e32 v117, 0x3b47, v72
	v_fma_f16 v149, v73, s16, -v148
	v_add_f16_e32 v140, v23, v140
	v_add_f16_e32 v128, v23, v128
	;; [unrolled: 1-line block ×3, first 2 shown]
	v_sub_f16_e32 v96, v96, v113
	v_add_f16_e32 v86, v23, v86
	v_add_f16_e32 v93, v112, v93
	;; [unrolled: 1-line block ×3, first 2 shown]
	v_fma_f16 v92, v70, s17, v81
	v_mul_f16_e32 v85, 0xba0c, v85
	v_add_f16_e32 v22, v58, v22
	v_add_f16_e32 v23, v23, v25
	v_fma_f16 v25, v68, s16, -v76
	v_mul_f16_e32 v120, 0x3abb, v73
	v_mul_f16_e32 v121, 0xb853, v75
	v_add_f16_e32 v145, v149, v145
	v_mul_f16_e32 v149, 0xbbeb, v90
	v_fma_f16 v141, v68, s23, v146
	v_fma_f16 v129, v68, s17, v134
	v_add_f16_e32 v91, v96, v91
	v_sub_f16_e32 v96, v100, v117
	v_add_f16_e32 v86, v93, v86
	v_add_f16_e32 v93, v116, v97
	;; [unrolled: 1-line block ×3, first 2 shown]
	v_fma_f16 v92, v73, s19, v85
	v_mul_f16_e32 v90, 0xb482, v90
	v_add_f16_e32 v22, v53, v22
	v_add_f16_e32 v23, v25, v23
	v_fma_f16 v25, v70, s17, -v81
	v_mul_f16_e32 v124, 0xb93d, v77
	v_mul_f16_e32 v125, 0xba0c, v80
	v_add_f16_e32 v140, v141, v140
	v_fma_f16 v141, v70, s19, v147
	v_add_f16_e32 v128, v129, v128
	v_fma_f16 v129, v70, s23, v135
	v_add_f16_e32 v91, v96, v91
	v_sub_f16_e32 v96, v103, v121
	v_add_f16_e32 v86, v93, v86
	v_add_f16_e32 v93, v120, v101
	;; [unrolled: 1-line block ×3, first 2 shown]
	v_fma_f16 v92, v77, s21, v90
	v_add_f16_e32 v22, v52, v22
	v_add_f16_e32 v23, v25, v23
	v_fma_f16 v25, v73, s19, -v85
	v_add_f16_e32 v140, v141, v140
	v_fma_f16 v141, v73, s16, v148
	v_add_f16_e32 v128, v129, v128
	v_fma_f16 v129, v73, s21, v136
	v_add_f16_e32 v91, v96, v91
	v_sub_f16_e32 v96, v105, v125
	v_add_f16_e32 v86, v93, v86
	v_add_f16_e32 v93, v124, v104
	;; [unrolled: 1-line block ×6, first 2 shown]
	v_fma_f16 v25, v77, s21, -v90
	v_add_f16_e32 v140, v141, v140
	v_fma_f16 v141, v77, s17, v149
	v_add_f16_e32 v128, v129, v128
	v_fma_f16 v129, v77, s16, v137
	v_add_f16_e32 v91, v96, v91
	v_add_f16_e32 v86, v93, v86
	;; [unrolled: 1-line block ×3, first 2 shown]
	v_lshlrev_b32_e32 v25, 2, v34
	v_pack_b32_f16 v26, v89, v83
	v_pack_b32_f16 v21, v21, v22
	v_fma_f16 v150, v77, s17, -v149
	v_add_f16_e32 v140, v141, v140
	v_add_f16_e32 v128, v129, v128
	ds_write2_b32 v25, v21, v26 offset1:1
	v_pack_b32_f16 v21, v86, v91
	v_pack_b32_f16 v22, v78, v82
	v_add_f16_e32 v145, v150, v145
	ds_write2_b32 v25, v22, v21 offset0:2 offset1:3
	v_pack_b32_f16 v21, v140, v138
	v_pack_b32_f16 v22, v128, v126
	ds_write2_b32 v25, v22, v21 offset0:4 offset1:5
	v_pack_b32_f16 v21, v133, v127
	v_pack_b32_f16 v22, v145, v139
	s_mov_b32 s16, 0x5040100
	ds_write2_b32 v25, v22, v21 offset0:6 offset1:7
	v_perm_b32 v21, v63, v62, s16
	v_perm_b32 v22, v65, v64, s16
	ds_write2_b32 v25, v22, v21 offset0:8 offset1:9
	v_pack_b32_f16 v21, v23, v24
	ds_write_b32 v25, v21 offset:40
.LBB0_21:
	s_or_b64 exec, exec, s[14:15]
	v_add_u32_e32 v23, 0xa00, v33
	s_waitcnt lgkmcnt(0)
	s_barrier
	ds_read2_b32 v[23:24], v23 offset0:20 offset1:185
	v_add_u32_e32 v27, 0xf00, v33
	ds_read2_b32 v[27:28], v27 offset0:30 offset1:195
	ds_read2_b32 v[21:22], v33 offset1:165
	v_add_u32_e32 v25, 0x400, v33
	s_waitcnt lgkmcnt(2)
	v_lshrrev_b32_e32 v30, 16, v23
	v_mul_f16_sdwa v55, v40, v30 dst_sel:DWORD dst_unused:UNUSED_PAD src0_sel:WORD_1 src1_sel:DWORD
	v_lshrrev_b32_e32 v35, 16, v24
	v_fma_f16 v55, v40, v23, v55
	v_mul_f16_sdwa v23, v40, v23 dst_sel:DWORD dst_unused:UNUSED_PAD src0_sel:WORD_1 src1_sel:DWORD
	v_fma_f16 v23, v40, v30, -v23
	v_mul_f16_sdwa v30, v39, v35 dst_sel:DWORD dst_unused:UNUSED_PAD src0_sel:WORD_1 src1_sel:DWORD
	s_waitcnt lgkmcnt(1)
	v_lshrrev_b32_e32 v52, 16, v27
	v_fma_f16 v30, v39, v24, v30
	v_mul_f16_sdwa v24, v39, v24 dst_sel:DWORD dst_unused:UNUSED_PAD src0_sel:WORD_1 src1_sel:DWORD
	ds_read2_b32 v[25:26], v25 offset0:74 offset1:239
	v_fma_f16 v24, v39, v35, -v24
	v_mul_f16_sdwa v35, v38, v52 dst_sel:DWORD dst_unused:UNUSED_PAD src0_sel:WORD_1 src1_sel:DWORD
	v_lshrrev_b32_e32 v54, 16, v28
	v_fma_f16 v35, v38, v27, v35
	v_mul_f16_sdwa v27, v38, v27 dst_sel:DWORD dst_unused:UNUSED_PAD src0_sel:WORD_1 src1_sel:DWORD
	v_fma_f16 v27, v38, v52, -v27
	v_mul_f16_sdwa v38, v37, v54 dst_sel:DWORD dst_unused:UNUSED_PAD src0_sel:WORD_1 src1_sel:DWORD
	s_waitcnt lgkmcnt(1)
	v_lshrrev_b32_e32 v29, 16, v21
	v_fma_f16 v38, v37, v28, v38
	v_mul_f16_sdwa v28, v37, v28 dst_sel:DWORD dst_unused:UNUSED_PAD src0_sel:WORD_1 src1_sel:DWORD
	v_lshrrev_b32_e32 v34, 16, v22
	v_fma_f16 v28, v37, v54, -v28
	v_sub_f16_e32 v37, v21, v55
	v_sub_f16_e32 v23, v29, v23
	s_waitcnt lgkmcnt(0)
	v_lshrrev_b32_e32 v36, 16, v25
	v_fma_f16 v21, v21, 2.0, -v37
	v_fma_f16 v39, v29, 2.0, -v23
	v_sub_f16_e32 v40, v22, v30
	v_sub_f16_e32 v24, v34, v24
	v_lshrrev_b32_e32 v53, 16, v26
	v_fma_f16 v22, v22, 2.0, -v40
	v_fma_f16 v34, v34, 2.0, -v24
	v_sub_f16_e32 v35, v25, v35
	v_sub_f16_e32 v52, v36, v27
	v_pack_b32_f16 v21, v21, v39
	v_pack_b32_f16 v23, v37, v23
	v_fma_f16 v25, v25, 2.0, -v35
	v_fma_f16 v36, v36, 2.0, -v52
	v_sub_f16_e32 v29, v26, v38
	v_sub_f16_e32 v30, v53, v28
	s_barrier
	ds_write2_b32 v44, v21, v23 offset1:11
	v_pack_b32_f16 v21, v22, v34
	v_pack_b32_f16 v22, v40, v24
	v_fma_f16 v27, v26, 2.0, -v29
	v_fma_f16 v28, v53, 2.0, -v30
	ds_write2_b32 v46, v21, v22 offset1:11
	v_pack_b32_f16 v21, v25, v36
	v_pack_b32_f16 v22, v35, v52
	ds_write2_b32 v47, v21, v22 offset1:11
	v_pack_b32_f16 v21, v27, v28
	v_pack_b32_f16 v22, v29, v30
	v_add_u32_e32 v23, 0x600, v33
	v_add_u32_e32 v25, 0xd00, v33
	ds_write2_b32 v48, v21, v22 offset1:11
	s_waitcnt lgkmcnt(0)
	s_barrier
	ds_read2_b32 v[21:22], v33 offset1:165
	ds_read2_b32 v[23:24], v23 offset0:56 offset1:221
	ds_read2_b32 v[25:26], v25 offset0:48 offset1:213
	s_and_saveexec_b64 s[14:15], s[2:3]
	s_cbranch_execz .LBB0_23
; %bb.22:
	ds_read_b32 v27, v33 offset:1320
	ds_read_b32 v29, v33 offset:3080
	;; [unrolled: 1-line block ×3, first 2 shown]
	s_waitcnt lgkmcnt(2)
	v_lshrrev_b32_e32 v28, 16, v27
	s_waitcnt lgkmcnt(1)
	v_lshrrev_b32_e32 v30, 16, v29
	s_waitcnt lgkmcnt(0)
	v_lshrrev_b32_e32 v65, 16, v64
.LBB0_23:
	s_or_b64 exec, exec, s[14:15]
	s_waitcnt lgkmcnt(1)
	v_lshrrev_b32_e32 v35, 16, v23
	v_mul_f16_sdwa v40, v17, v35 dst_sel:DWORD dst_unused:UNUSED_PAD src0_sel:WORD_1 src1_sel:DWORD
	s_waitcnt lgkmcnt(0)
	v_lshrrev_b32_e32 v36, 16, v25
	v_fma_f16 v40, v17, v23, v40
	v_mul_f16_sdwa v23, v17, v23 dst_sel:DWORD dst_unused:UNUSED_PAD src0_sel:WORD_1 src1_sel:DWORD
	v_fma_f16 v17, v17, v35, -v23
	v_mul_f16_sdwa v23, v18, v36 dst_sel:DWORD dst_unused:UNUSED_PAD src0_sel:WORD_1 src1_sel:DWORD
	v_lshrrev_b32_e32 v38, 16, v24
	v_fma_f16 v23, v18, v25, v23
	v_mul_f16_sdwa v25, v18, v25 dst_sel:DWORD dst_unused:UNUSED_PAD src0_sel:WORD_1 src1_sel:DWORD
	v_fma_f16 v18, v18, v36, -v25
	v_mul_f16_sdwa v25, v15, v38 dst_sel:DWORD dst_unused:UNUSED_PAD src0_sel:WORD_1 src1_sel:DWORD
	v_lshrrev_b32_e32 v39, 16, v26
	v_fma_f16 v25, v15, v24, v25
	v_mul_f16_sdwa v24, v15, v24 dst_sel:DWORD dst_unused:UNUSED_PAD src0_sel:WORD_1 src1_sel:DWORD
	v_fma_f16 v24, v15, v38, -v24
	v_mul_f16_sdwa v15, v16, v39 dst_sel:DWORD dst_unused:UNUSED_PAD src0_sel:WORD_1 src1_sel:DWORD
	v_fma_f16 v35, v16, v26, v15
	v_mul_f16_sdwa v15, v16, v26 dst_sel:DWORD dst_unused:UNUSED_PAD src0_sel:WORD_1 src1_sel:DWORD
	v_fma_f16 v16, v16, v39, -v15
	v_mul_f16_sdwa v15, v19, v30 dst_sel:DWORD dst_unused:UNUSED_PAD src0_sel:WORD_1 src1_sel:DWORD
	v_fma_f16 v26, v19, v29, v15
	v_mul_f16_sdwa v15, v19, v29 dst_sel:DWORD dst_unused:UNUSED_PAD src0_sel:WORD_1 src1_sel:DWORD
	v_fma_f16 v29, v19, v30, -v15
	v_mul_f16_sdwa v15, v20, v65 dst_sel:DWORD dst_unused:UNUSED_PAD src0_sel:WORD_1 src1_sel:DWORD
	v_fma_f16 v30, v20, v64, v15
	v_mul_f16_sdwa v15, v20, v64 dst_sel:DWORD dst_unused:UNUSED_PAD src0_sel:WORD_1 src1_sel:DWORD
	v_fma_f16 v20, v20, v65, -v15
	v_add_f16_e32 v15, v21, v40
	v_add_f16_e32 v36, v15, v23
	;; [unrolled: 1-line block ×3, first 2 shown]
	v_lshrrev_b32_e32 v34, 16, v21
	v_fma_f16 v15, v15, -0.5, v21
	v_sub_f16_e32 v19, v17, v18
	s_mov_b32 s14, 0xbaee
	s_movk_i32 s15, 0x3aee
	v_fma_f16 v38, v19, s14, v15
	v_fma_f16 v39, v19, s15, v15
	v_add_f16_e32 v15, v34, v17
	v_add_f16_e32 v44, v15, v18
	;; [unrolled: 1-line block ×3, first 2 shown]
	v_fma_f16 v15, v15, -0.5, v34
	v_sub_f16_e32 v17, v40, v23
	v_fma_f16 v23, v17, s15, v15
	v_fma_f16 v34, v17, s14, v15
	v_add_f16_e32 v15, v22, v25
	v_add_f16_e32 v18, v30, v26
	;; [unrolled: 1-line block ×4, first 2 shown]
	v_fma_f16 v19, v18, -0.5, v27
	v_sub_f16_e32 v21, v29, v20
	v_lshrrev_b32_e32 v37, 16, v22
	v_fma_f16 v15, v15, -0.5, v22
	v_sub_f16_e32 v17, v24, v16
	v_fma_f16 v18, v21, s14, v19
	v_fma_f16 v19, v21, s15, v19
	v_add_f16_e32 v21, v29, v28
	v_fma_f16 v46, v17, s14, v15
	v_fma_f16 v15, v17, s15, v15
	v_add_f16_e32 v17, v37, v24
	v_add_f16_e32 v22, v20, v21
	v_add_f16_e32 v20, v20, v29
	v_add_f16_e32 v47, v17, v16
	v_add_f16_e32 v16, v24, v16
	v_sub_f16_e32 v17, v25, v35
	v_fma_f16 v20, v20, -0.5, v28
	v_sub_f16_e32 v25, v26, v30
	v_fma_f16 v16, v16, -0.5, v37
	v_fma_f16 v21, v25, s15, v20
	v_fma_f16 v20, v25, s14, v20
	v_pack_b32_f16 v25, v36, v44
	v_pack_b32_f16 v23, v38, v23
	v_fma_f16 v24, v17, s15, v16
	s_barrier
	ds_write2_b32 v49, v25, v23 offset1:22
	v_pack_b32_f16 v23, v39, v34
	v_fma_f16 v16, v17, s14, v16
	v_add_f16_e32 v17, v27, v26
	ds_write_b32 v49, v23 offset:176
	v_pack_b32_f16 v23, v40, v47
	v_pack_b32_f16 v24, v46, v24
	v_add_f16_e32 v17, v30, v17
	ds_write2_b32 v50, v23, v24 offset1:22
	v_pack_b32_f16 v23, v15, v16
	ds_write_b32 v50, v23 offset:176
	s_and_saveexec_b64 s[14:15], s[2:3]
	s_cbranch_execz .LBB0_25
; %bb.24:
	s_movk_i32 s2, 0x42
	v_mad_legacy_u16 v23, v43, s2, v45
	s_mov_b32 s2, 0x5040100
	v_lshlrev_b32_e32 v23, 2, v23
	v_perm_b32 v24, v22, v17, s2
	v_perm_b32 v25, v21, v18, s2
	ds_write2_b32 v23, v24, v25 offset1:22
	v_perm_b32 v24, v20, v19, s2
	ds_write_b32 v23, v24 offset:176
.LBB0_25:
	s_or_b64 exec, exec, s[14:15]
	s_waitcnt lgkmcnt(0)
	s_barrier
	ds_read_b32 v23, v33
	ds_read_b32 v27, v33 offset:1056
	ds_read_b32 v26, v33 offset:2112
	;; [unrolled: 1-line block ×4, first 2 shown]
	s_and_saveexec_b64 s[2:3], s[4:5]
	s_cbranch_execz .LBB0_27
; %bb.26:
	ds_read_b32 v15, v33 offset:660
	ds_read_b32 v17, v33 offset:1716
	;; [unrolled: 1-line block ×5, first 2 shown]
	s_waitcnt lgkmcnt(4)
	v_lshrrev_b32_e32 v16, 16, v15
	s_waitcnt lgkmcnt(3)
	v_lshrrev_b32_e32 v22, 16, v17
	;; [unrolled: 2-line block ×5, first 2 shown]
.LBB0_27:
	s_or_b64 exec, exec, s[2:3]
	s_waitcnt lgkmcnt(3)
	v_lshrrev_b32_e32 v29, 16, v27
	v_mul_f16_sdwa v36, v4, v29 dst_sel:DWORD dst_unused:UNUSED_PAD src0_sel:WORD_1 src1_sel:DWORD
	s_waitcnt lgkmcnt(2)
	v_lshrrev_b32_e32 v30, 16, v26
	v_fma_f16 v36, v4, v27, v36
	v_mul_f16_sdwa v27, v4, v27 dst_sel:DWORD dst_unused:UNUSED_PAD src0_sel:WORD_1 src1_sel:DWORD
	v_fma_f16 v4, v4, v29, -v27
	v_mul_f16_sdwa v27, v5, v30 dst_sel:DWORD dst_unused:UNUSED_PAD src0_sel:WORD_1 src1_sel:DWORD
	s_waitcnt lgkmcnt(1)
	v_lshrrev_b32_e32 v34, 16, v25
	v_fma_f16 v27, v5, v26, v27
	v_mul_f16_sdwa v26, v5, v26 dst_sel:DWORD dst_unused:UNUSED_PAD src0_sel:WORD_1 src1_sel:DWORD
	v_fma_f16 v5, v5, v30, -v26
	;; [unrolled: 6-line block ×3, first 2 shown]
	v_mul_f16_sdwa v25, v7, v35 dst_sel:DWORD dst_unused:UNUSED_PAD src0_sel:WORD_1 src1_sel:DWORD
	v_fma_f16 v25, v7, v24, v25
	v_mul_f16_sdwa v24, v7, v24 dst_sel:DWORD dst_unused:UNUSED_PAD src0_sel:WORD_1 src1_sel:DWORD
	v_fma_f16 v7, v7, v35, -v24
	v_add_f16_e32 v29, v27, v26
	v_fma_f16 v29, v29, -0.5, v23
	v_sub_f16_e32 v30, v4, v7
	s_mov_b32 s14, 0xbb9c
	s_movk_i32 s17, 0x3b9c
	v_fma_f16 v34, v30, s14, v29
	v_sub_f16_e32 v35, v5, v6
	s_mov_b32 s16, 0xb8b4
	v_sub_f16_e32 v37, v36, v27
	v_sub_f16_e32 v38, v25, v26
	v_fma_f16 v29, v30, s17, v29
	s_movk_i32 s18, 0x38b4
	v_fma_f16 v34, v35, s16, v34
	v_add_f16_e32 v37, v37, v38
	s_movk_i32 s15, 0x34f2
	v_fma_f16 v29, v35, s18, v29
	v_add_f16_e32 v24, v23, v36
	v_fma_f16 v34, v37, s15, v34
	v_fma_f16 v29, v37, s15, v29
	v_add_f16_e32 v37, v36, v25
	v_lshrrev_b32_e32 v28, 16, v23
	v_add_f16_e32 v24, v24, v27
	v_fma_f16 v23, v37, -0.5, v23
	v_add_f16_e32 v24, v24, v26
	v_fma_f16 v37, v35, s17, v23
	v_fma_f16 v23, v35, s14, v23
	v_add_f16_e32 v35, v5, v6
	v_add_f16_e32 v24, v24, v25
	v_sub_f16_e32 v38, v27, v36
	v_sub_f16_e32 v39, v26, v25
	v_fma_f16 v35, v35, -0.5, v28
	v_sub_f16_e32 v25, v36, v25
	v_fma_f16 v37, v30, s16, v37
	v_add_f16_e32 v38, v38, v39
	v_fma_f16 v23, v30, s18, v23
	v_fma_f16 v36, v25, s17, v35
	v_sub_f16_e32 v26, v27, v26
	v_fma_f16 v37, v38, s15, v37
	v_fma_f16 v23, v38, s15, v23
	;; [unrolled: 1-line block ×3, first 2 shown]
	v_sub_f16_e32 v36, v4, v5
	v_sub_f16_e32 v38, v7, v6
	v_fma_f16 v35, v25, s14, v35
	v_add_f16_e32 v36, v36, v38
	v_fma_f16 v35, v26, s16, v35
	v_add_f16_e32 v30, v28, v4
	v_fma_f16 v27, v36, s15, v27
	v_fma_f16 v35, v36, s15, v35
	v_add_f16_e32 v36, v4, v7
	v_add_f16_e32 v30, v30, v5
	v_fma_f16 v28, v36, -0.5, v28
	v_add_f16_e32 v30, v30, v6
	v_fma_f16 v36, v26, s14, v28
	v_sub_f16_e32 v4, v5, v4
	v_sub_f16_e32 v5, v6, v7
	v_fma_f16 v6, v26, s17, v28
	v_fma_f16 v36, v25, s18, v36
	v_add_f16_e32 v4, v4, v5
	v_fma_f16 v6, v25, s16, v6
	v_fma_f16 v5, v4, s15, v36
	;; [unrolled: 1-line block ×3, first 2 shown]
	v_add_f16_e32 v30, v30, v7
	v_pack_b32_f16 v5, v37, v5
	v_pack_b32_f16 v4, v23, v4
	s_barrier
	v_pack_b32_f16 v6, v24, v30
	v_pack_b32_f16 v7, v34, v27
	ds_write2_b32 v51, v5, v4 offset0:132 offset1:198
	v_pack_b32_f16 v4, v29, v35
	ds_write2_b32 v51, v6, v7 offset1:66
	ds_write_b32 v51, v4 offset:1056
	s_and_saveexec_b64 s[2:3], s[4:5]
	s_cbranch_execz .LBB0_29
; %bb.28:
	v_mul_f16_sdwa v4, v1, v18 dst_sel:DWORD dst_unused:UNUSED_PAD src0_sel:WORD_1 src1_sel:DWORD
	v_mul_f16_sdwa v5, v0, v17 dst_sel:DWORD dst_unused:UNUSED_PAD src0_sel:WORD_1 src1_sel:DWORD
	v_fma_f16 v4, v1, v21, -v4
	v_fma_f16 v5, v0, v22, -v5
	v_mul_f16_sdwa v22, v0, v22 dst_sel:DWORD dst_unused:UNUSED_PAD src0_sel:WORD_1 src1_sel:DWORD
	v_mul_f16_sdwa v21, v1, v21 dst_sel:DWORD dst_unused:UNUSED_PAD src0_sel:WORD_1 src1_sel:DWORD
	;; [unrolled: 1-line block ×4, first 2 shown]
	v_fma_f16 v0, v0, v17, v22
	v_mul_f16_sdwa v17, v3, v63 dst_sel:DWORD dst_unused:UNUSED_PAD src0_sel:WORD_1 src1_sel:DWORD
	v_fma_f16 v1, v1, v18, v21
	v_mul_f16_sdwa v18, v2, v20 dst_sel:DWORD dst_unused:UNUSED_PAD src0_sel:WORD_1 src1_sel:DWORD
	v_fma_f16 v7, v2, v20, -v7
	v_fma_f16 v23, v3, v63, -v23
	v_fma_f16 v3, v3, v62, v17
	v_fma_f16 v2, v2, v19, v18
	v_sub_f16_e32 v20, v1, v0
	v_sub_f16_e32 v21, v2, v3
	;; [unrolled: 1-line block ×7, first 2 shown]
	v_add_f16_e32 v22, v23, v5
	v_add_f16_e32 v20, v21, v20
	v_add_f16_e32 v21, v3, v0
	v_add_f16_e32 v27, v28, v27
	v_add_f16_e32 v28, v7, v4
	v_add_f16_e32 v30, v34, v30
	v_add_f16_e32 v34, v2, v1
	v_add_f16_e32 v0, v15, v0
	v_sub_f16_e32 v6, v4, v5
	v_sub_f16_e32 v24, v7, v23
	v_fma_f16 v22, v22, -0.5, v16
	v_sub_f16_e32 v18, v1, v2
	v_sub_f16_e32 v26, v5, v23
	v_fma_f16 v28, v28, -0.5, v16
	v_fma_f16 v34, v34, -0.5, v15
	v_add_f16_e32 v5, v5, v16
	v_add_f16_e32 v0, v1, v0
	;; [unrolled: 1-line block ×3, first 2 shown]
	v_fma_f16 v19, v18, s14, v22
	v_fma_f16 v21, v21, -0.5, v15
	v_sub_f16_e32 v24, v4, v7
	v_fma_f16 v29, v17, s17, v28
	v_fma_f16 v35, v26, s14, v34
	v_add_f16_e32 v4, v4, v5
	v_add_f16_e32 v0, v2, v0
	v_fma_f16 v1, v18, s17, v22
	v_fma_f16 v19, v17, s18, v19
	;; [unrolled: 1-line block ×5, first 2 shown]
	v_add_f16_e32 v4, v7, v4
	v_add_f16_e32 v0, v3, v0
	v_fma_f16 v1, v17, s16, v1
	v_fma_f16 v3, v24, s14, v21
	s_movk_i32 s4, 0x14a
	v_fma_f16 v19, v6, s15, v19
	v_fma_f16 v25, v26, s16, v25
	;; [unrolled: 1-line block ×4, first 2 shown]
	v_add_f16_e32 v4, v23, v4
	v_fma_f16 v1, v6, s15, v1
	v_fma_f16 v2, v17, s14, v28
	;; [unrolled: 1-line block ×4, first 2 shown]
	v_mad_legacy_u16 v6, v41, s4, v42
	v_fma_f16 v25, v20, s15, v25
	v_fma_f16 v2, v18, s16, v2
	;; [unrolled: 1-line block ×4, first 2 shown]
	v_lshlrev_b32_e32 v6, 2, v6
	v_pack_b32_f16 v0, v0, v4
	v_pack_b32_f16 v4, v35, v29
	v_fma_f16 v2, v27, s15, v2
	v_fma_f16 v5, v30, s15, v5
	ds_write2_b32 v6, v0, v4 offset1:66
	v_pack_b32_f16 v0, v25, v19
	v_pack_b32_f16 v1, v3, v1
	ds_write2_b32 v6, v0, v1 offset0:132 offset1:198
	v_pack_b32_f16 v0, v5, v2
	ds_write_b32 v6, v0 offset:1056
.LBB0_29:
	s_or_b64 exec, exec, s[2:3]
	v_add_u32_e32 v15, 0x400, v33
	s_waitcnt lgkmcnt(0)
	s_barrier
	ds_read2_b32 v[2:3], v15 offset0:74 offset1:239
	v_add_u32_e32 v16, 0xa00, v33
	ds_read2_b32 v[4:5], v16 offset0:20 offset1:185
	v_add_u32_e32 v17, 0xf00, v33
	ds_read2_b32 v[6:7], v17 offset0:30 offset1:195
	s_waitcnt lgkmcnt(2)
	v_lshrrev_b32_e32 v19, 16, v2
	v_mul_f16_sdwa v26, v8, v19 dst_sel:DWORD dst_unused:UNUSED_PAD src0_sel:WORD_1 src1_sel:DWORD
	s_waitcnt lgkmcnt(1)
	v_lshrrev_b32_e32 v20, 16, v4
	v_fma_f16 v26, v8, v2, v26
	v_mul_f16_sdwa v2, v8, v2 dst_sel:DWORD dst_unused:UNUSED_PAD src0_sel:WORD_1 src1_sel:DWORD
	v_fma_f16 v2, v8, v19, -v2
	v_mul_f16_sdwa v8, v9, v20 dst_sel:DWORD dst_unused:UNUSED_PAD src0_sel:WORD_1 src1_sel:DWORD
	s_waitcnt lgkmcnt(0)
	v_lshrrev_b32_e32 v21, 16, v6
	v_fma_f16 v8, v9, v4, v8
	v_mul_f16_sdwa v4, v9, v4 dst_sel:DWORD dst_unused:UNUSED_PAD src0_sel:WORD_1 src1_sel:DWORD
	v_fma_f16 v4, v9, v20, -v4
	v_mul_f16_sdwa v9, v10, v21 dst_sel:DWORD dst_unused:UNUSED_PAD src0_sel:WORD_1 src1_sel:DWORD
	v_lshrrev_b32_e32 v23, 16, v3
	v_fma_f16 v9, v10, v6, v9
	v_mul_f16_sdwa v6, v10, v6 dst_sel:DWORD dst_unused:UNUSED_PAD src0_sel:WORD_1 src1_sel:DWORD
	v_fma_f16 v6, v10, v21, -v6
	v_mul_f16_sdwa v10, v11, v23 dst_sel:DWORD dst_unused:UNUSED_PAD src0_sel:WORD_1 src1_sel:DWORD
	ds_read2_b32 v[0:1], v33 offset1:165
	v_lshrrev_b32_e32 v24, 16, v5
	v_fma_f16 v10, v11, v3, v10
	v_mul_f16_sdwa v3, v11, v3 dst_sel:DWORD dst_unused:UNUSED_PAD src0_sel:WORD_1 src1_sel:DWORD
	v_fma_f16 v3, v11, v23, -v3
	v_mul_f16_sdwa v11, v12, v24 dst_sel:DWORD dst_unused:UNUSED_PAD src0_sel:WORD_1 src1_sel:DWORD
	v_lshrrev_b32_e32 v25, 16, v7
	v_fma_f16 v11, v12, v5, v11
	v_mul_f16_sdwa v5, v12, v5 dst_sel:DWORD dst_unused:UNUSED_PAD src0_sel:WORD_1 src1_sel:DWORD
	v_fma_f16 v5, v12, v24, -v5
	v_mul_f16_sdwa v12, v13, v25 dst_sel:DWORD dst_unused:UNUSED_PAD src0_sel:WORD_1 src1_sel:DWORD
	v_fma_f16 v12, v13, v7, v12
	v_mul_f16_sdwa v7, v13, v7 dst_sel:DWORD dst_unused:UNUSED_PAD src0_sel:WORD_1 src1_sel:DWORD
	s_waitcnt lgkmcnt(0)
	v_lshrrev_b32_e32 v18, 16, v0
	v_lshrrev_b32_e32 v22, 16, v1
	v_fma_f16 v7, v13, v25, -v7
	v_sub_f16_e32 v8, v0, v8
	v_sub_f16_e32 v4, v18, v4
	;; [unrolled: 1-line block ×8, first 2 shown]
	v_fma_f16 v0, v0, 2.0, -v8
	v_fma_f16 v13, v18, 2.0, -v4
	;; [unrolled: 1-line block ×8, first 2 shown]
	v_sub_f16_e32 v18, v0, v18
	v_sub_f16_e32 v2, v13, v2
	;; [unrolled: 1-line block ×4, first 2 shown]
	v_fma_f16 v0, v0, 2.0, -v18
	v_fma_f16 v13, v13, 2.0, -v2
	v_add_f16_e32 v6, v8, v6
	v_sub_f16_e32 v9, v4, v9
	v_fma_f16 v1, v1, 2.0, -v10
	v_fma_f16 v19, v19, 2.0, -v3
	v_add_f16_e32 v7, v11, v7
	v_sub_f16_e32 v12, v5, v12
	v_fma_f16 v8, v8, 2.0, -v6
	v_fma_f16 v4, v4, 2.0, -v9
	;; [unrolled: 1-line block ×4, first 2 shown]
	v_pack_b32_f16 v0, v0, v13
	v_pack_b32_f16 v1, v1, v19
	;; [unrolled: 1-line block ×3, first 2 shown]
	ds_write2_b32 v33, v0, v1 offset1:165
	v_pack_b32_f16 v0, v11, v5
	v_pack_b32_f16 v2, v18, v2
	ds_write2_b32 v15, v4, v0 offset0:74 offset1:239
	v_pack_b32_f16 v0, v10, v3
	v_pack_b32_f16 v6, v6, v9
	ds_write2_b32 v16, v2, v0 offset0:20 offset1:185
	v_pack_b32_f16 v0, v7, v12
	ds_write2_b32 v17, v6, v0 offset0:30 offset1:195
	s_waitcnt lgkmcnt(0)
	s_barrier
	s_and_b64 exec, exec, s[0:1]
	s_cbranch_execz .LBB0_31
; %bb.30:
	global_load_dword v5, v31, s[6:7]
	ds_read_b32 v6, v33
	global_load_dword v3, v31, s[6:7] offset:480
	global_load_dword v4, v31, s[6:7] offset:960
	;; [unrolled: 1-line block ×5, first 2 shown]
	v_mad_u64_u32 v[0:1], s[0:1], s10, v14, 0
	v_mov_b32_e32 v10, s7
	v_add_co_u32_e32 v11, vcc, s6, v31
	s_movk_i32 s0, 0x1000
	v_addc_co_u32_e32 v10, vcc, 0, v10, vcc
	v_add_co_u32_e32 v12, vcc, s0, v11
	v_addc_co_u32_e32 v13, vcc, 0, v10, vcc
	global_load_dword v11, v[12:13], off offset:224
	global_load_dword v10, v[12:13], off offset:704
	s_waitcnt lgkmcnt(0)
	v_lshrrev_b32_e32 v12, 16, v6
	s_mov_b32 s14, 0x8d3018d3
	s_mov_b32 s15, 0x3f48d301
	v_mov_b32_e32 v2, 0x7c00
	v_mad_u64_u32 v[14:15], s[0:1], s11, v14, v[1:2]
	s_movk_i32 s10, 0x1ff
	s_movk_i32 s16, 0xffe
	v_mov_b32_e32 v1, v14
	v_mad_u64_u32 v[15:16], s[0:1], s8, v32, 0
	ds_read2_b32 v[17:18], v31 offset0:120 offset1:240
	s_movk_i32 s17, 0x40f
	s_mov_b32 s18, 0x8000
	v_lshlrev_b64 v[0:1], 2, v[0:1]
	s_waitcnt vmcnt(7)
	v_mul_f16_sdwa v13, v12, v5 dst_sel:DWORD dst_unused:UNUSED_PAD src0_sel:DWORD src1_sel:WORD_1
	v_fma_f16 v13, v6, v5, v13
	v_mul_f16_sdwa v6, v6, v5 dst_sel:DWORD dst_unused:UNUSED_PAD src0_sel:DWORD src1_sel:WORD_1
	v_cvt_f32_f16_e32 v13, v13
	v_fma_f16 v5, v5, v12, -v6
	v_cvt_f32_f16_e32 v12, v5
	v_cvt_f64_f32_e32 v[5:6], v13
	v_cvt_f64_f32_e32 v[12:13], v12
	v_mul_f64 v[5:6], v[5:6], s[14:15]
	v_mul_f64 v[12:13], v[12:13], s[14:15]
	v_and_or_b32 v5, v6, s10, v5
	v_cmp_ne_u32_e32 vcc, 0, v5
	v_and_or_b32 v12, v13, s10, v12
	v_lshrrev_b32_e32 v14, 8, v6
	v_bfe_u32 v19, v6, 20, 11
	v_cndmask_b32_e64 v5, 0, 1, vcc
	v_cmp_ne_u32_e32 vcc, 0, v12
	v_lshrrev_b32_e32 v20, 8, v13
	v_bfe_u32 v21, v13, 20, 11
	v_sub_u32_e32 v22, 0x3f1, v19
	v_cndmask_b32_e64 v12, 0, 1, vcc
	v_and_or_b32 v5, v14, s16, v5
	v_sub_u32_e32 v23, 0x3f1, v21
	v_med3_i32 v14, v22, 0, 13
	v_and_or_b32 v12, v20, s16, v12
	v_or_b32_e32 v22, 0x1000, v5
	v_add_u32_e32 v19, 0xfffffc10, v19
	v_med3_i32 v20, v23, 0, 13
	v_cmp_ne_u32_e32 vcc, 0, v5
	v_or_b32_e32 v24, 0x1000, v12
	v_lshrrev_b32_e32 v26, v14, v22
	v_add_u32_e32 v21, 0xfffffc10, v21
	v_lshl_or_b32 v23, v19, 12, v5
	v_cndmask_b32_e64 v5, 0, 1, vcc
	v_cmp_ne_u32_e32 vcc, 0, v12
	v_lshrrev_b32_e32 v27, v20, v24
	v_lshlrev_b32_e32 v14, v14, v26
	v_lshl_or_b32 v25, v21, 12, v12
	v_cndmask_b32_e64 v12, 0, 1, vcc
	v_lshlrev_b32_e32 v20, v20, v27
	v_cmp_ne_u32_e32 vcc, v14, v22
	v_cndmask_b32_e64 v14, 0, 1, vcc
	v_cmp_ne_u32_e32 vcc, v20, v24
	v_cndmask_b32_e64 v20, 0, 1, vcc
	v_or_b32_e32 v14, v26, v14
	v_cmp_gt_i32_e32 vcc, 1, v19
	v_cndmask_b32_e32 v14, v23, v14, vcc
	v_or_b32_e32 v20, v27, v20
	v_cmp_gt_i32_e32 vcc, 1, v21
	v_and_b32_e32 v22, 7, v14
	v_cndmask_b32_e32 v20, v25, v20, vcc
	v_cmp_lt_i32_e32 vcc, 5, v22
	v_cmp_eq_u32_e64 s[0:1], 3, v22
	v_lshrrev_b32_e32 v14, 2, v14
	v_and_b32_e32 v23, 7, v20
	s_or_b64 vcc, s[0:1], vcc
	v_cmp_lt_i32_e64 s[2:3], 5, v23
	v_cmp_eq_u32_e64 s[4:5], 3, v23
	v_addc_co_u32_e32 v14, vcc, 0, v14, vcc
	v_lshrrev_b32_e32 v20, 2, v20
	s_or_b64 vcc, s[4:5], s[2:3]
	v_addc_co_u32_e32 v20, vcc, 0, v20, vcc
	v_cmp_gt_i32_e32 vcc, 31, v19
	v_cndmask_b32_e32 v14, v2, v14, vcc
	v_cmp_gt_i32_e32 vcc, 31, v21
	v_lshl_or_b32 v5, v5, 9, v2
	v_cndmask_b32_e32 v20, v2, v20, vcc
	v_cmp_eq_u32_e32 vcc, s17, v19
	v_lshrrev_b32_e32 v6, 16, v6
	v_cndmask_b32_e32 v5, v14, v5, vcc
	v_and_or_b32 v14, v6, s18, v5
	v_mov_b32_e32 v5, v16
	v_mad_u64_u32 v[5:6], s[0:1], s9, v32, v[5:6]
	s_waitcnt lgkmcnt(0)
	v_lshrrev_b32_e32 v19, 16, v17
	s_waitcnt vmcnt(6)
	v_mul_f16_sdwa v6, v19, v3 dst_sel:DWORD dst_unused:UNUSED_PAD src0_sel:DWORD src1_sel:WORD_1
	v_fma_f16 v6, v17, v3, v6
	v_cvt_f32_f16_e32 v6, v6
	v_mov_b32_e32 v16, v5
	v_lshl_or_b32 v12, v12, 9, v2
	v_cmp_eq_u32_e32 vcc, s17, v21
	v_cvt_f64_f32_e32 v[5:6], v6
	v_lshrrev_b32_e32 v13, 16, v13
	v_cndmask_b32_e32 v12, v20, v12, vcc
	v_and_or_b32 v12, v13, s18, v12
	v_mul_f64 v[5:6], v[5:6], s[14:15]
	v_and_b32_e32 v13, 0xffff, v14
	v_lshl_or_b32 v12, v12, 16, v13
	v_mov_b32_e32 v13, s13
	v_add_co_u32_e32 v14, vcc, s12, v0
	v_addc_co_u32_e32 v13, vcc, v13, v1, vcc
	v_lshlrev_b64 v[0:1], 2, v[15:16]
	v_and_or_b32 v5, v6, s10, v5
	v_add_co_u32_e32 v0, vcc, v14, v0
	v_addc_co_u32_e32 v1, vcc, v13, v1, vcc
	v_cmp_ne_u32_e32 vcc, 0, v5
	global_store_dword v[0:1], v12, off
	v_cndmask_b32_e64 v5, 0, 1, vcc
	v_lshrrev_b32_e32 v12, 8, v6
	v_bfe_u32 v13, v6, 20, 11
	v_and_or_b32 v5, v12, s16, v5
	v_sub_u32_e32 v14, 0x3f1, v13
	v_or_b32_e32 v12, 0x1000, v5
	v_med3_i32 v14, v14, 0, 13
	v_lshrrev_b32_e32 v15, v14, v12
	v_lshlrev_b32_e32 v14, v14, v15
	v_cmp_ne_u32_e32 vcc, v14, v12
	v_cndmask_b32_e64 v12, 0, 1, vcc
	v_or_b32_e32 v12, v15, v12
	v_mul_f16_sdwa v15, v17, v3 dst_sel:DWORD dst_unused:UNUSED_PAD src0_sel:DWORD src1_sel:WORD_1
	v_fma_f16 v3, v3, v19, -v15
	v_add_u32_e32 v14, 0xfffffc10, v13
	v_cvt_f32_f16_e32 v3, v3
	v_lshl_or_b32 v13, v14, 12, v5
	v_cmp_gt_i32_e32 vcc, 1, v14
	v_cndmask_b32_e32 v12, v13, v12, vcc
	v_and_b32_e32 v13, 7, v12
	v_cmp_lt_i32_e32 vcc, 5, v13
	v_cmp_eq_u32_e64 s[0:1], 3, v13
	v_lshrrev_b32_e32 v15, 2, v12
	v_cvt_f64_f32_e32 v[12:13], v3
	s_or_b64 vcc, s[0:1], vcc
	v_addc_co_u32_e32 v3, vcc, 0, v15, vcc
	v_mul_f64 v[12:13], v[12:13], s[14:15]
	v_cmp_gt_i32_e32 vcc, 31, v14
	v_cndmask_b32_e32 v3, v2, v3, vcc
	v_cmp_ne_u32_e32 vcc, 0, v5
	v_cndmask_b32_e64 v5, 0, 1, vcc
	v_lshl_or_b32 v5, v5, 9, v2
	v_cmp_eq_u32_e32 vcc, s17, v14
	v_cndmask_b32_e32 v3, v3, v5, vcc
	v_lshrrev_b32_e32 v5, 16, v6
	v_and_or_b32 v3, v5, s18, v3
	v_and_or_b32 v5, v13, s10, v12
	v_cmp_ne_u32_e32 vcc, 0, v5
	v_cndmask_b32_e64 v5, 0, 1, vcc
	v_lshrrev_b32_e32 v6, 8, v13
	v_bfe_u32 v12, v13, 20, 11
	v_and_or_b32 v5, v6, s16, v5
	v_sub_u32_e32 v14, 0x3f1, v12
	v_or_b32_e32 v6, 0x1000, v5
	v_med3_i32 v14, v14, 0, 13
	v_lshrrev_b32_e32 v15, v14, v6
	v_lshlrev_b32_e32 v14, v14, v15
	v_cmp_ne_u32_e32 vcc, v14, v6
	v_cndmask_b32_e64 v6, 0, 1, vcc
	v_add_u32_e32 v12, 0xfffffc10, v12
	v_or_b32_e32 v6, v15, v6
	v_lshl_or_b32 v14, v12, 12, v5
	v_cmp_gt_i32_e32 vcc, 1, v12
	v_cndmask_b32_e32 v6, v14, v6, vcc
	v_and_b32_e32 v14, 7, v6
	v_cmp_lt_i32_e32 vcc, 5, v14
	v_cmp_eq_u32_e64 s[0:1], 3, v14
	v_lshrrev_b32_e32 v6, 2, v6
	s_or_b64 vcc, s[0:1], vcc
	v_addc_co_u32_e32 v6, vcc, 0, v6, vcc
	v_cmp_gt_i32_e32 vcc, 31, v12
	v_cndmask_b32_e32 v6, v2, v6, vcc
	v_cmp_ne_u32_e32 vcc, 0, v5
	v_cndmask_b32_e64 v5, 0, 1, vcc
	v_lshl_or_b32 v5, v5, 9, v2
	v_cmp_eq_u32_e32 vcc, s17, v12
	v_lshrrev_b32_e32 v12, 16, v18
	v_cndmask_b32_e32 v5, v6, v5, vcc
	v_lshrrev_b32_e32 v6, 16, v13
	s_waitcnt vmcnt(6)
	v_mul_f16_sdwa v13, v12, v4 dst_sel:DWORD dst_unused:UNUSED_PAD src0_sel:DWORD src1_sel:WORD_1
	v_fma_f16 v13, v18, v4, v13
	v_cvt_f32_f16_e32 v13, v13
	v_and_or_b32 v5, v6, s18, v5
	v_and_b32_e32 v3, 0xffff, v3
	v_lshl_or_b32 v3, v5, 16, v3
	v_cvt_f64_f32_e32 v[5:6], v13
	s_mul_i32 s0, s9, 0x1e0
	s_mul_hi_u32 s2, s8, 0x1e0
	s_add_i32 s2, s2, s0
	v_mul_f64 v[5:6], v[5:6], s[14:15]
	s_mul_i32 s3, s8, 0x1e0
	v_mov_b32_e32 v13, s2
	v_add_co_u32_e32 v0, vcc, s3, v0
	v_addc_co_u32_e32 v1, vcc, v1, v13, vcc
	global_store_dword v[0:1], v3, off
	v_and_or_b32 v3, v6, s10, v5
	v_cmp_ne_u32_e32 vcc, 0, v3
	v_cndmask_b32_e64 v3, 0, 1, vcc
	v_lshrrev_b32_e32 v5, 8, v6
	v_bfe_u32 v13, v6, 20, 11
	v_and_or_b32 v5, v5, s16, v3
	v_sub_u32_e32 v14, 0x3f1, v13
	v_or_b32_e32 v3, 0x1000, v5
	v_med3_i32 v14, v14, 0, 13
	v_lshrrev_b32_e32 v15, v14, v3
	v_lshlrev_b32_e32 v14, v14, v15
	v_cmp_ne_u32_e32 vcc, v14, v3
	v_cndmask_b32_e64 v3, 0, 1, vcc
	v_or_b32_e32 v3, v15, v3
	v_mul_f16_sdwa v15, v18, v4 dst_sel:DWORD dst_unused:UNUSED_PAD src0_sel:DWORD src1_sel:WORD_1
	v_fma_f16 v4, v4, v12, -v15
	v_cvt_f32_f16_e32 v4, v4
	v_add_u32_e32 v13, 0xfffffc10, v13
	v_lshl_or_b32 v14, v13, 12, v5
	v_cmp_gt_i32_e32 vcc, 1, v13
	v_cndmask_b32_e32 v3, v14, v3, vcc
	v_and_b32_e32 v14, 7, v3
	v_lshrrev_b32_e32 v12, 2, v3
	v_cvt_f64_f32_e32 v[3:4], v4
	v_cmp_lt_i32_e32 vcc, 5, v14
	v_cmp_eq_u32_e64 s[0:1], 3, v14
	s_or_b64 vcc, s[0:1], vcc
	v_mul_f64 v[3:4], v[3:4], s[14:15]
	v_addc_co_u32_e32 v12, vcc, 0, v12, vcc
	v_cmp_gt_i32_e32 vcc, 31, v13
	v_cndmask_b32_e32 v12, v2, v12, vcc
	v_cmp_ne_u32_e32 vcc, 0, v5
	v_cndmask_b32_e64 v5, 0, 1, vcc
	v_lshl_or_b32 v5, v5, 9, v2
	v_cmp_eq_u32_e32 vcc, s17, v13
	v_and_or_b32 v3, v4, s10, v3
	v_cndmask_b32_e32 v5, v12, v5, vcc
	v_lshrrev_b32_e32 v6, 16, v6
	v_cmp_ne_u32_e32 vcc, 0, v3
	v_and_or_b32 v14, v6, s18, v5
	v_cndmask_b32_e64 v3, 0, 1, vcc
	v_lshrrev_b32_e32 v5, 8, v4
	v_bfe_u32 v6, v4, 20, 11
	v_and_or_b32 v3, v5, s16, v3
	v_sub_u32_e32 v12, 0x3f1, v6
	v_or_b32_e32 v5, 0x1000, v3
	v_med3_i32 v12, v12, 0, 13
	v_lshrrev_b32_e32 v13, v12, v5
	v_lshlrev_b32_e32 v12, v12, v13
	v_cmp_ne_u32_e32 vcc, v12, v5
	v_cndmask_b32_e64 v5, 0, 1, vcc
	v_add_u32_e32 v12, 0xfffffc10, v6
	v_or_b32_e32 v5, v13, v5
	v_lshl_or_b32 v6, v12, 12, v3
	v_cmp_gt_i32_e32 vcc, 1, v12
	v_cndmask_b32_e32 v5, v6, v5, vcc
	v_and_b32_e32 v6, 7, v5
	v_cmp_lt_i32_e32 vcc, 5, v6
	v_cmp_eq_u32_e64 s[0:1], 3, v6
	v_lshrrev_b32_e32 v5, 2, v5
	s_or_b64 vcc, s[0:1], vcc
	v_addc_co_u32_e32 v13, vcc, 0, v5, vcc
	v_add_u32_e32 v5, 0x400, v31
	ds_read2_b32 v[5:6], v5 offset0:104 offset1:224
	v_cmp_gt_i32_e32 vcc, 31, v12
	v_cndmask_b32_e32 v13, v2, v13, vcc
	v_cmp_ne_u32_e32 vcc, 0, v3
	v_cndmask_b32_e64 v3, 0, 1, vcc
	s_waitcnt lgkmcnt(0)
	v_lshrrev_b32_e32 v15, 16, v5
	s_waitcnt vmcnt(6)
	v_mul_f16_sdwa v16, v15, v7 dst_sel:DWORD dst_unused:UNUSED_PAD src0_sel:DWORD src1_sel:WORD_1
	v_fma_f16 v16, v5, v7, v16
	v_cvt_f32_f16_e32 v16, v16
	v_lshl_or_b32 v3, v3, 9, v2
	v_cmp_eq_u32_e32 vcc, s17, v12
	v_cndmask_b32_e32 v3, v13, v3, vcc
	v_cvt_f64_f32_e32 v[12:13], v16
	v_lshrrev_b32_e32 v4, 16, v4
	v_and_or_b32 v16, v4, s18, v3
	v_add_co_u32_e32 v0, vcc, s3, v0
	v_mul_f64 v[3:4], v[12:13], s[14:15]
	v_mov_b32_e32 v13, s2
	v_and_b32_e32 v14, 0xffff, v14
	v_addc_co_u32_e32 v1, vcc, v1, v13, vcc
	v_lshl_or_b32 v12, v16, 16, v14
	global_store_dword v[0:1], v12, off
	v_mul_f16_sdwa v5, v5, v7 dst_sel:DWORD dst_unused:UNUSED_PAD src0_sel:DWORD src1_sel:WORD_1
	v_and_or_b32 v3, v4, s10, v3
	v_cmp_ne_u32_e32 vcc, 0, v3
	v_cndmask_b32_e64 v3, 0, 1, vcc
	v_lshrrev_b32_e32 v12, 8, v4
	v_bfe_u32 v13, v4, 20, 11
	v_and_or_b32 v3, v12, s16, v3
	v_sub_u32_e32 v14, 0x3f1, v13
	v_or_b32_e32 v12, 0x1000, v3
	v_med3_i32 v14, v14, 0, 13
	v_lshrrev_b32_e32 v16, v14, v12
	v_lshlrev_b32_e32 v14, v14, v16
	v_cmp_ne_u32_e32 vcc, v14, v12
	v_fma_f16 v5, v7, v15, -v5
	v_cndmask_b32_e64 v12, 0, 1, vcc
	v_add_u32_e32 v14, 0xfffffc10, v13
	v_cvt_f32_f16_e32 v5, v5
	v_or_b32_e32 v12, v16, v12
	v_lshl_or_b32 v13, v14, 12, v3
	v_cmp_gt_i32_e32 vcc, 1, v14
	v_cndmask_b32_e32 v12, v13, v12, vcc
	v_and_b32_e32 v13, 7, v12
	v_cmp_lt_i32_e32 vcc, 5, v13
	v_cmp_eq_u32_e64 s[0:1], 3, v13
	v_lshrrev_b32_e32 v7, 2, v12
	v_cvt_f64_f32_e32 v[12:13], v5
	s_or_b64 vcc, s[0:1], vcc
	v_addc_co_u32_e32 v5, vcc, 0, v7, vcc
	v_mul_f64 v[12:13], v[12:13], s[14:15]
	v_cmp_gt_i32_e32 vcc, 31, v14
	v_cndmask_b32_e32 v5, v2, v5, vcc
	v_cmp_ne_u32_e32 vcc, 0, v3
	v_cndmask_b32_e64 v3, 0, 1, vcc
	v_lshl_or_b32 v3, v3, 9, v2
	v_cmp_eq_u32_e32 vcc, s17, v14
	v_cndmask_b32_e32 v3, v5, v3, vcc
	v_lshrrev_b32_e32 v4, 16, v4
	v_and_or_b32 v5, v4, s18, v3
	v_and_or_b32 v3, v13, s10, v12
	v_cmp_ne_u32_e32 vcc, 0, v3
	v_cndmask_b32_e64 v3, 0, 1, vcc
	v_lshrrev_b32_e32 v4, 8, v13
	v_bfe_u32 v7, v13, 20, 11
	v_and_or_b32 v3, v4, s16, v3
	v_sub_u32_e32 v12, 0x3f1, v7
	v_or_b32_e32 v4, 0x1000, v3
	v_med3_i32 v12, v12, 0, 13
	v_lshrrev_b32_e32 v14, v12, v4
	v_lshlrev_b32_e32 v12, v12, v14
	v_cmp_ne_u32_e32 vcc, v12, v4
	v_cndmask_b32_e64 v4, 0, 1, vcc
	v_add_u32_e32 v7, 0xfffffc10, v7
	v_or_b32_e32 v4, v14, v4
	v_lshl_or_b32 v12, v7, 12, v3
	v_cmp_gt_i32_e32 vcc, 1, v7
	v_cndmask_b32_e32 v4, v12, v4, vcc
	v_and_b32_e32 v12, 7, v4
	v_cmp_lt_i32_e32 vcc, 5, v12
	v_cmp_eq_u32_e64 s[0:1], 3, v12
	v_lshrrev_b32_e32 v12, 16, v6
	v_lshrrev_b32_e32 v4, 2, v4
	s_or_b64 vcc, s[0:1], vcc
	s_waitcnt vmcnt(6)
	v_mul_f16_sdwa v14, v12, v8 dst_sel:DWORD dst_unused:UNUSED_PAD src0_sel:DWORD src1_sel:WORD_1
	v_addc_co_u32_e32 v4, vcc, 0, v4, vcc
	v_fma_f16 v14, v6, v8, v14
	v_cmp_gt_i32_e32 vcc, 31, v7
	v_cvt_f32_f16_e32 v14, v14
	v_cndmask_b32_e32 v4, v2, v4, vcc
	v_cmp_ne_u32_e32 vcc, 0, v3
	v_cndmask_b32_e64 v3, 0, 1, vcc
	v_lshl_or_b32 v3, v3, 9, v2
	v_cmp_eq_u32_e32 vcc, s17, v7
	v_cndmask_b32_e32 v7, v4, v3, vcc
	v_cvt_f64_f32_e32 v[3:4], v14
	v_lshrrev_b32_e32 v13, 16, v13
	v_and_or_b32 v7, v13, s18, v7
	v_and_b32_e32 v5, 0xffff, v5
	v_mul_f64 v[3:4], v[3:4], s[14:15]
	v_lshl_or_b32 v5, v7, 16, v5
	v_mov_b32_e32 v7, s2
	v_add_co_u32_e32 v0, vcc, s3, v0
	v_addc_co_u32_e32 v1, vcc, v1, v7, vcc
	global_store_dword v[0:1], v5, off
	v_and_or_b32 v3, v4, s10, v3
	v_cmp_ne_u32_e32 vcc, 0, v3
	v_cndmask_b32_e64 v3, 0, 1, vcc
	v_lshrrev_b32_e32 v5, 8, v4
	v_bfe_u32 v7, v4, 20, 11
	v_and_or_b32 v3, v5, s16, v3
	v_sub_u32_e32 v13, 0x3f1, v7
	v_or_b32_e32 v5, 0x1000, v3
	v_med3_i32 v13, v13, 0, 13
	v_lshrrev_b32_e32 v14, v13, v5
	v_mul_f16_sdwa v6, v6, v8 dst_sel:DWORD dst_unused:UNUSED_PAD src0_sel:DWORD src1_sel:WORD_1
	v_lshlrev_b32_e32 v13, v13, v14
	v_fma_f16 v6, v8, v12, -v6
	v_cmp_ne_u32_e32 vcc, v13, v5
	v_cvt_f32_f16_e32 v6, v6
	v_cndmask_b32_e64 v5, 0, 1, vcc
	v_add_u32_e32 v7, 0xfffffc10, v7
	v_or_b32_e32 v5, v14, v5
	v_lshl_or_b32 v13, v7, 12, v3
	v_cmp_gt_i32_e32 vcc, 1, v7
	v_cndmask_b32_e32 v5, v13, v5, vcc
	v_and_b32_e32 v13, 7, v5
	v_lshrrev_b32_e32 v8, 2, v5
	v_cvt_f64_f32_e32 v[5:6], v6
	v_cmp_lt_i32_e32 vcc, 5, v13
	v_cmp_eq_u32_e64 s[0:1], 3, v13
	s_or_b64 vcc, s[0:1], vcc
	v_mul_f64 v[5:6], v[5:6], s[14:15]
	v_addc_co_u32_e32 v8, vcc, 0, v8, vcc
	v_cmp_gt_i32_e32 vcc, 31, v7
	v_cndmask_b32_e32 v8, v2, v8, vcc
	v_cmp_ne_u32_e32 vcc, 0, v3
	v_cndmask_b32_e64 v3, 0, 1, vcc
	v_lshl_or_b32 v3, v3, 9, v2
	v_cmp_eq_u32_e32 vcc, s17, v7
	v_cndmask_b32_e32 v3, v8, v3, vcc
	v_lshrrev_b32_e32 v4, 16, v4
	v_and_or_b32 v7, v4, s18, v3
	v_and_or_b32 v3, v6, s10, v5
	v_cmp_ne_u32_e32 vcc, 0, v3
	v_cndmask_b32_e64 v3, 0, 1, vcc
	v_lshrrev_b32_e32 v4, 8, v6
	v_and_or_b32 v5, v4, s16, v3
	v_bfe_u32 v4, v6, 20, 11
	v_sub_u32_e32 v8, 0x3f1, v4
	v_or_b32_e32 v3, 0x1000, v5
	v_med3_i32 v8, v8, 0, 13
	v_lshrrev_b32_e32 v12, v8, v3
	v_lshlrev_b32_e32 v8, v8, v12
	v_cmp_ne_u32_e32 vcc, v8, v3
	v_cndmask_b32_e64 v3, 0, 1, vcc
	v_add_u32_e32 v8, 0xfffffc10, v4
	v_or_b32_e32 v3, v12, v3
	v_lshl_or_b32 v4, v8, 12, v5
	v_cmp_gt_i32_e32 vcc, 1, v8
	v_cndmask_b32_e32 v3, v4, v3, vcc
	v_and_b32_e32 v4, 7, v3
	v_cmp_lt_i32_e32 vcc, 5, v4
	v_cmp_eq_u32_e64 s[0:1], 3, v4
	v_lshrrev_b32_e32 v3, 2, v3
	s_or_b64 vcc, s[0:1], vcc
	v_addc_co_u32_e32 v12, vcc, 0, v3, vcc
	v_cmp_gt_i32_e32 vcc, 31, v8
	v_cndmask_b32_e32 v12, v2, v12, vcc
	v_cmp_ne_u32_e32 vcc, 0, v5
	v_cndmask_b32_e64 v5, 0, 1, vcc
	v_lshl_or_b32 v5, v5, 9, v2
	v_cmp_eq_u32_e32 vcc, s17, v8
	v_cndmask_b32_e32 v8, v12, v5, vcc
	v_lshrrev_b32_e32 v12, 16, v6
	v_and_or_b32 v8, v12, s18, v8
	global_load_dword v12, v31, s[6:7] offset:2880
	v_add_u32_e32 v3, 0x800, v31
	ds_read2_b32 v[3:4], v3 offset0:88 offset1:208
	v_and_b32_e32 v7, 0xffff, v7
	v_lshl_or_b32 v7, v8, 16, v7
	v_mov_b32_e32 v8, s2
	v_add_co_u32_e32 v0, vcc, s3, v0
	s_waitcnt lgkmcnt(0)
	v_lshrrev_b32_e32 v13, 16, v3
	s_waitcnt vmcnt(7)
	v_mul_f16_sdwa v14, v13, v9 dst_sel:DWORD dst_unused:UNUSED_PAD src0_sel:DWORD src1_sel:WORD_1
	v_fma_f16 v14, v3, v9, v14
	v_cvt_f32_f16_e32 v14, v14
	v_addc_co_u32_e32 v1, vcc, v1, v8, vcc
	global_store_dword v[0:1], v7, off
	v_cvt_f64_f32_e32 v[5:6], v14
	v_mul_f16_sdwa v3, v3, v9 dst_sel:DWORD dst_unused:UNUSED_PAD src0_sel:DWORD src1_sel:WORD_1
	v_fma_f16 v3, v9, v13, -v3
	v_cvt_f32_f16_e32 v3, v3
	v_mul_f64 v[5:6], v[5:6], s[14:15]
	v_and_or_b32 v5, v6, s10, v5
	v_cmp_ne_u32_e32 vcc, 0, v5
	v_cndmask_b32_e64 v5, 0, 1, vcc
	v_lshrrev_b32_e32 v7, 8, v6
	v_bfe_u32 v8, v6, 20, 11
	v_and_or_b32 v5, v7, s16, v5
	v_sub_u32_e32 v14, 0x3f1, v8
	v_or_b32_e32 v7, 0x1000, v5
	v_med3_i32 v14, v14, 0, 13
	v_lshrrev_b32_e32 v15, v14, v7
	v_lshlrev_b32_e32 v14, v14, v15
	v_cmp_ne_u32_e32 vcc, v14, v7
	v_cndmask_b32_e64 v7, 0, 1, vcc
	v_add_u32_e32 v14, 0xfffffc10, v8
	v_or_b32_e32 v7, v15, v7
	v_lshl_or_b32 v8, v14, 12, v5
	v_cmp_gt_i32_e32 vcc, 1, v14
	v_cndmask_b32_e32 v7, v8, v7, vcc
	v_and_b32_e32 v8, 7, v7
	v_cmp_lt_i32_e32 vcc, 5, v8
	v_cmp_eq_u32_e64 s[0:1], 3, v8
	v_lshrrev_b32_e32 v9, 2, v7
	v_cvt_f64_f32_e32 v[7:8], v3
	s_or_b64 vcc, s[0:1], vcc
	v_addc_co_u32_e32 v3, vcc, 0, v9, vcc
	v_mul_f64 v[7:8], v[7:8], s[14:15]
	v_cmp_gt_i32_e32 vcc, 31, v14
	v_cndmask_b32_e32 v3, v2, v3, vcc
	v_cmp_ne_u32_e32 vcc, 0, v5
	v_cndmask_b32_e64 v5, 0, 1, vcc
	v_lshl_or_b32 v5, v5, 9, v2
	v_cmp_eq_u32_e32 vcc, s17, v14
	v_cndmask_b32_e32 v3, v3, v5, vcc
	v_lshrrev_b32_e32 v5, 16, v6
	v_and_or_b32 v3, v5, s18, v3
	v_and_or_b32 v5, v8, s10, v7
	v_cmp_ne_u32_e32 vcc, 0, v5
	v_cndmask_b32_e64 v5, 0, 1, vcc
	v_lshrrev_b32_e32 v6, 8, v8
	v_bfe_u32 v7, v8, 20, 11
	v_and_or_b32 v5, v6, s16, v5
	v_sub_u32_e32 v9, 0x3f1, v7
	v_or_b32_e32 v6, 0x1000, v5
	v_med3_i32 v9, v9, 0, 13
	v_lshrrev_b32_e32 v13, v9, v6
	v_lshlrev_b32_e32 v9, v9, v13
	v_cmp_ne_u32_e32 vcc, v9, v6
	v_cndmask_b32_e64 v6, 0, 1, vcc
	v_or_b32_e32 v6, v13, v6
	global_load_dword v13, v31, s[6:7] offset:3360
	global_load_dword v14, v31, s[6:7] offset:3840
	v_add_u32_e32 v7, 0xfffffc10, v7
	v_lshl_or_b32 v9, v7, 12, v5
	v_cmp_gt_i32_e32 vcc, 1, v7
	v_cndmask_b32_e32 v6, v9, v6, vcc
	v_and_b32_e32 v9, 7, v6
	v_cmp_lt_i32_e32 vcc, 5, v9
	v_cmp_eq_u32_e64 s[0:1], 3, v9
	v_lshrrev_b32_e32 v9, 16, v4
	v_lshrrev_b32_e32 v6, 2, v6
	s_or_b64 vcc, s[0:1], vcc
	s_waitcnt vmcnt(3)
	v_mul_f16_sdwa v15, v9, v12 dst_sel:DWORD dst_unused:UNUSED_PAD src0_sel:DWORD src1_sel:WORD_1
	v_addc_co_u32_e32 v6, vcc, 0, v6, vcc
	v_fma_f16 v15, v4, v12, v15
	v_cmp_gt_i32_e32 vcc, 31, v7
	v_cvt_f32_f16_e32 v15, v15
	v_cndmask_b32_e32 v6, v2, v6, vcc
	v_cmp_ne_u32_e32 vcc, 0, v5
	v_cndmask_b32_e64 v5, 0, 1, vcc
	v_lshl_or_b32 v5, v5, 9, v2
	v_cmp_eq_u32_e32 vcc, s17, v7
	v_cndmask_b32_e32 v7, v6, v5, vcc
	v_cvt_f64_f32_e32 v[5:6], v15
	v_lshrrev_b32_e32 v8, 16, v8
	v_and_or_b32 v7, v8, s18, v7
	v_and_b32_e32 v3, 0xffff, v3
	v_mul_f64 v[5:6], v[5:6], s[14:15]
	v_lshl_or_b32 v3, v7, 16, v3
	v_mov_b32_e32 v7, s2
	v_add_co_u32_e32 v0, vcc, s3, v0
	v_addc_co_u32_e32 v1, vcc, v1, v7, vcc
	global_store_dword v[0:1], v3, off
	v_and_or_b32 v3, v6, s10, v5
	v_cmp_ne_u32_e32 vcc, 0, v3
	v_cndmask_b32_e64 v3, 0, 1, vcc
	v_lshrrev_b32_e32 v5, 8, v6
	v_bfe_u32 v7, v6, 20, 11
	v_and_or_b32 v5, v5, s16, v3
	v_sub_u32_e32 v8, 0x3f1, v7
	v_or_b32_e32 v3, 0x1000, v5
	v_med3_i32 v8, v8, 0, 13
	v_lshrrev_b32_e32 v15, v8, v3
	v_lshlrev_b32_e32 v8, v8, v15
	v_mul_f16_sdwa v4, v4, v12 dst_sel:DWORD dst_unused:UNUSED_PAD src0_sel:DWORD src1_sel:WORD_1
	v_cmp_ne_u32_e32 vcc, v8, v3
	v_fma_f16 v4, v12, v9, -v4
	v_cndmask_b32_e64 v3, 0, 1, vcc
	v_add_u32_e32 v7, 0xfffffc10, v7
	v_cvt_f32_f16_e32 v4, v4
	v_or_b32_e32 v3, v15, v3
	v_lshl_or_b32 v8, v7, 12, v5
	v_cmp_gt_i32_e32 vcc, 1, v7
	v_cndmask_b32_e32 v3, v8, v3, vcc
	v_and_b32_e32 v8, 7, v3
	v_cmp_lt_i32_e32 vcc, 5, v8
	v_cmp_eq_u32_e64 s[0:1], 3, v8
	v_lshrrev_b32_e32 v8, 2, v3
	v_cvt_f64_f32_e32 v[3:4], v4
	s_or_b64 vcc, s[0:1], vcc
	v_addc_co_u32_e32 v8, vcc, 0, v8, vcc
	v_mul_f64 v[3:4], v[3:4], s[14:15]
	v_cmp_gt_i32_e32 vcc, 31, v7
	v_cndmask_b32_e32 v8, v2, v8, vcc
	v_cmp_ne_u32_e32 vcc, 0, v5
	v_cndmask_b32_e64 v5, 0, 1, vcc
	v_lshl_or_b32 v5, v5, 9, v2
	v_cmp_eq_u32_e32 vcc, s17, v7
	v_cndmask_b32_e32 v5, v8, v5, vcc
	v_and_or_b32 v3, v4, s10, v3
	v_lshrrev_b32_e32 v6, 16, v6
	v_cmp_ne_u32_e32 vcc, 0, v3
	v_and_or_b32 v9, v6, s18, v5
	v_cndmask_b32_e64 v3, 0, 1, vcc
	v_lshrrev_b32_e32 v5, 8, v4
	v_bfe_u32 v6, v4, 20, 11
	v_and_or_b32 v3, v5, s16, v3
	v_sub_u32_e32 v7, 0x3f1, v6
	v_or_b32_e32 v5, 0x1000, v3
	v_med3_i32 v7, v7, 0, 13
	v_lshrrev_b32_e32 v8, v7, v5
	v_lshlrev_b32_e32 v7, v7, v8
	v_cmp_ne_u32_e32 vcc, v7, v5
	v_cndmask_b32_e64 v5, 0, 1, vcc
	v_add_u32_e32 v7, 0xfffffc10, v6
	v_or_b32_e32 v5, v8, v5
	v_lshl_or_b32 v6, v7, 12, v3
	v_cmp_gt_i32_e32 vcc, 1, v7
	v_cndmask_b32_e32 v5, v6, v5, vcc
	v_and_b32_e32 v6, 7, v5
	v_cmp_lt_i32_e32 vcc, 5, v6
	v_cmp_eq_u32_e64 s[0:1], 3, v6
	v_lshrrev_b32_e32 v5, 2, v5
	s_or_b64 vcc, s[0:1], vcc
	v_addc_co_u32_e32 v8, vcc, 0, v5, vcc
	v_add_u32_e32 v5, 0xc00, v31
	ds_read2_b32 v[5:6], v5 offset0:72 offset1:192
	v_cmp_gt_i32_e32 vcc, 31, v7
	v_cndmask_b32_e32 v8, v2, v8, vcc
	v_cmp_ne_u32_e32 vcc, 0, v3
	v_cndmask_b32_e64 v3, 0, 1, vcc
	s_waitcnt lgkmcnt(0)
	v_lshrrev_b32_e32 v12, 16, v5
	s_waitcnt vmcnt(2)
	v_mul_f16_sdwa v15, v12, v13 dst_sel:DWORD dst_unused:UNUSED_PAD src0_sel:DWORD src1_sel:WORD_1
	v_fma_f16 v15, v5, v13, v15
	v_cvt_f32_f16_e32 v15, v15
	v_lshl_or_b32 v3, v3, 9, v2
	v_cmp_eq_u32_e32 vcc, s17, v7
	v_cndmask_b32_e32 v3, v8, v3, vcc
	v_cvt_f64_f32_e32 v[7:8], v15
	v_lshrrev_b32_e32 v4, 16, v4
	v_and_or_b32 v15, v4, s18, v3
	v_add_co_u32_e32 v0, vcc, s3, v0
	v_mul_f64 v[3:4], v[7:8], s[14:15]
	v_mov_b32_e32 v8, s2
	v_and_b32_e32 v9, 0xffff, v9
	v_addc_co_u32_e32 v1, vcc, v1, v8, vcc
	v_lshl_or_b32 v7, v15, 16, v9
	global_store_dword v[0:1], v7, off
	v_mul_f16_sdwa v5, v5, v13 dst_sel:DWORD dst_unused:UNUSED_PAD src0_sel:DWORD src1_sel:WORD_1
	v_and_or_b32 v3, v4, s10, v3
	v_cmp_ne_u32_e32 vcc, 0, v3
	v_cndmask_b32_e64 v3, 0, 1, vcc
	v_lshrrev_b32_e32 v7, 8, v4
	v_bfe_u32 v8, v4, 20, 11
	v_and_or_b32 v3, v7, s16, v3
	v_sub_u32_e32 v9, 0x3f1, v8
	v_or_b32_e32 v7, 0x1000, v3
	v_med3_i32 v9, v9, 0, 13
	v_lshrrev_b32_e32 v15, v9, v7
	v_lshlrev_b32_e32 v9, v9, v15
	v_cmp_ne_u32_e32 vcc, v9, v7
	v_fma_f16 v5, v13, v12, -v5
	v_cndmask_b32_e64 v7, 0, 1, vcc
	v_add_u32_e32 v9, 0xfffffc10, v8
	v_cvt_f32_f16_e32 v5, v5
	v_or_b32_e32 v7, v15, v7
	v_lshl_or_b32 v8, v9, 12, v3
	v_cmp_gt_i32_e32 vcc, 1, v9
	v_cndmask_b32_e32 v7, v8, v7, vcc
	v_and_b32_e32 v8, 7, v7
	v_cmp_lt_i32_e32 vcc, 5, v8
	v_cmp_eq_u32_e64 s[0:1], 3, v8
	v_lshrrev_b32_e32 v12, 2, v7
	v_cvt_f64_f32_e32 v[7:8], v5
	s_or_b64 vcc, s[0:1], vcc
	v_addc_co_u32_e32 v5, vcc, 0, v12, vcc
	v_mul_f64 v[7:8], v[7:8], s[14:15]
	v_cmp_gt_i32_e32 vcc, 31, v9
	v_cndmask_b32_e32 v5, v2, v5, vcc
	v_cmp_ne_u32_e32 vcc, 0, v3
	v_cndmask_b32_e64 v3, 0, 1, vcc
	v_lshl_or_b32 v3, v3, 9, v2
	v_cmp_eq_u32_e32 vcc, s17, v9
	v_cndmask_b32_e32 v3, v5, v3, vcc
	v_lshrrev_b32_e32 v4, 16, v4
	v_and_or_b32 v5, v4, s18, v3
	v_and_or_b32 v3, v8, s10, v7
	v_cmp_ne_u32_e32 vcc, 0, v3
	v_cndmask_b32_e64 v3, 0, 1, vcc
	v_lshrrev_b32_e32 v4, 8, v8
	v_bfe_u32 v7, v8, 20, 11
	v_and_or_b32 v3, v4, s16, v3
	v_sub_u32_e32 v9, 0x3f1, v7
	v_or_b32_e32 v4, 0x1000, v3
	v_med3_i32 v9, v9, 0, 13
	v_lshrrev_b32_e32 v12, v9, v4
	v_lshlrev_b32_e32 v9, v9, v12
	v_cmp_ne_u32_e32 vcc, v9, v4
	v_cndmask_b32_e64 v4, 0, 1, vcc
	v_add_u32_e32 v7, 0xfffffc10, v7
	v_or_b32_e32 v4, v12, v4
	v_lshl_or_b32 v9, v7, 12, v3
	v_cmp_gt_i32_e32 vcc, 1, v7
	v_cndmask_b32_e32 v4, v9, v4, vcc
	v_and_b32_e32 v9, 7, v4
	v_cmp_lt_i32_e32 vcc, 5, v9
	v_cmp_eq_u32_e64 s[0:1], 3, v9
	v_lshrrev_b32_e32 v9, 16, v6
	v_lshrrev_b32_e32 v4, 2, v4
	s_or_b64 vcc, s[0:1], vcc
	s_waitcnt vmcnt(2)
	v_mul_f16_sdwa v12, v9, v14 dst_sel:DWORD dst_unused:UNUSED_PAD src0_sel:DWORD src1_sel:WORD_1
	v_addc_co_u32_e32 v4, vcc, 0, v4, vcc
	v_fma_f16 v12, v6, v14, v12
	v_cmp_gt_i32_e32 vcc, 31, v7
	v_cvt_f32_f16_e32 v12, v12
	v_cndmask_b32_e32 v4, v2, v4, vcc
	v_cmp_ne_u32_e32 vcc, 0, v3
	v_cndmask_b32_e64 v3, 0, 1, vcc
	v_lshl_or_b32 v3, v3, 9, v2
	v_cmp_eq_u32_e32 vcc, s17, v7
	v_cndmask_b32_e32 v7, v4, v3, vcc
	v_cvt_f64_f32_e32 v[3:4], v12
	v_lshrrev_b32_e32 v8, 16, v8
	v_and_or_b32 v7, v8, s18, v7
	v_and_b32_e32 v5, 0xffff, v5
	v_mul_f64 v[3:4], v[3:4], s[14:15]
	v_lshl_or_b32 v5, v7, 16, v5
	v_mov_b32_e32 v7, s2
	v_add_co_u32_e32 v0, vcc, s3, v0
	v_addc_co_u32_e32 v1, vcc, v1, v7, vcc
	global_store_dword v[0:1], v5, off
	v_and_or_b32 v3, v4, s10, v3
	v_cmp_ne_u32_e32 vcc, 0, v3
	v_cndmask_b32_e64 v3, 0, 1, vcc
	v_lshrrev_b32_e32 v5, 8, v4
	v_bfe_u32 v7, v4, 20, 11
	v_and_or_b32 v3, v5, s16, v3
	v_sub_u32_e32 v8, 0x3f1, v7
	v_or_b32_e32 v5, 0x1000, v3
	v_med3_i32 v8, v8, 0, 13
	v_lshrrev_b32_e32 v12, v8, v5
	v_lshlrev_b32_e32 v8, v8, v12
	v_mul_f16_sdwa v6, v6, v14 dst_sel:DWORD dst_unused:UNUSED_PAD src0_sel:DWORD src1_sel:WORD_1
	v_cmp_ne_u32_e32 vcc, v8, v5
	v_fma_f16 v6, v14, v9, -v6
	v_cndmask_b32_e64 v5, 0, 1, vcc
	v_add_u32_e32 v7, 0xfffffc10, v7
	v_cvt_f32_f16_e32 v6, v6
	v_or_b32_e32 v5, v12, v5
	v_lshl_or_b32 v8, v7, 12, v3
	v_cmp_gt_i32_e32 vcc, 1, v7
	v_cndmask_b32_e32 v5, v8, v5, vcc
	v_and_b32_e32 v8, 7, v5
	v_cmp_lt_i32_e32 vcc, 5, v8
	v_cmp_eq_u32_e64 s[0:1], 3, v8
	v_lshrrev_b32_e32 v8, 2, v5
	v_cvt_f64_f32_e32 v[5:6], v6
	s_or_b64 vcc, s[0:1], vcc
	v_addc_co_u32_e32 v8, vcc, 0, v8, vcc
	v_mul_f64 v[5:6], v[5:6], s[14:15]
	v_cmp_gt_i32_e32 vcc, 31, v7
	v_cndmask_b32_e32 v8, v2, v8, vcc
	v_cmp_ne_u32_e32 vcc, 0, v3
	v_cndmask_b32_e64 v3, 0, 1, vcc
	v_lshl_or_b32 v3, v3, 9, v2
	v_cmp_eq_u32_e32 vcc, s17, v7
	v_cndmask_b32_e32 v3, v8, v3, vcc
	v_lshrrev_b32_e32 v4, 16, v4
	v_and_or_b32 v9, v4, s18, v3
	v_and_or_b32 v3, v6, s10, v5
	v_cmp_ne_u32_e32 vcc, 0, v3
	v_cndmask_b32_e64 v3, 0, 1, vcc
	v_lshrrev_b32_e32 v4, 8, v6
	v_and_or_b32 v5, v4, s16, v3
	v_bfe_u32 v4, v6, 20, 11
	v_sub_u32_e32 v7, 0x3f1, v4
	v_or_b32_e32 v3, 0x1000, v5
	v_med3_i32 v7, v7, 0, 13
	v_lshrrev_b32_e32 v8, v7, v3
	v_lshlrev_b32_e32 v7, v7, v8
	v_cmp_ne_u32_e32 vcc, v7, v3
	v_cndmask_b32_e64 v3, 0, 1, vcc
	v_add_u32_e32 v7, 0xfffffc10, v4
	v_or_b32_e32 v3, v8, v3
	v_lshl_or_b32 v4, v7, 12, v5
	v_cmp_gt_i32_e32 vcc, 1, v7
	v_cndmask_b32_e32 v3, v4, v3, vcc
	v_and_b32_e32 v4, 7, v3
	v_cmp_lt_i32_e32 vcc, 5, v4
	v_cmp_eq_u32_e64 s[0:1], 3, v4
	v_lshrrev_b32_e32 v3, 2, v3
	s_or_b64 vcc, s[0:1], vcc
	v_addc_co_u32_e32 v8, vcc, 0, v3, vcc
	v_add_u32_e32 v3, 0x1000, v31
	ds_read2_b32 v[3:4], v3 offset0:56 offset1:176
	v_cmp_gt_i32_e32 vcc, 31, v7
	v_cndmask_b32_e32 v8, v2, v8, vcc
	v_cmp_ne_u32_e32 vcc, 0, v5
	v_cndmask_b32_e64 v5, 0, 1, vcc
	s_waitcnt lgkmcnt(0)
	v_lshrrev_b32_e32 v12, 16, v3
	v_mul_f16_sdwa v13, v12, v11 dst_sel:DWORD dst_unused:UNUSED_PAD src0_sel:DWORD src1_sel:WORD_1
	v_fma_f16 v13, v3, v11, v13
	v_cvt_f32_f16_e32 v13, v13
	v_lshl_or_b32 v5, v5, 9, v2
	v_cmp_eq_u32_e32 vcc, s17, v7
	v_cndmask_b32_e32 v5, v8, v5, vcc
	v_cvt_f64_f32_e32 v[7:8], v13
	v_lshrrev_b32_e32 v6, 16, v6
	v_and_or_b32 v13, v6, s18, v5
	v_add_co_u32_e32 v0, vcc, s3, v0
	v_mul_f64 v[5:6], v[7:8], s[14:15]
	v_mov_b32_e32 v8, s2
	v_and_b32_e32 v9, 0xffff, v9
	v_addc_co_u32_e32 v1, vcc, v1, v8, vcc
	v_lshl_or_b32 v7, v13, 16, v9
	global_store_dword v[0:1], v7, off
	v_mul_f16_sdwa v3, v3, v11 dst_sel:DWORD dst_unused:UNUSED_PAD src0_sel:DWORD src1_sel:WORD_1
	v_and_or_b32 v5, v6, s10, v5
	v_cmp_ne_u32_e32 vcc, 0, v5
	v_cndmask_b32_e64 v5, 0, 1, vcc
	v_lshrrev_b32_e32 v7, 8, v6
	v_bfe_u32 v8, v6, 20, 11
	v_and_or_b32 v5, v7, s16, v5
	v_sub_u32_e32 v9, 0x3f1, v8
	v_or_b32_e32 v7, 0x1000, v5
	v_med3_i32 v9, v9, 0, 13
	v_lshrrev_b32_e32 v13, v9, v7
	v_lshlrev_b32_e32 v9, v9, v13
	v_cmp_ne_u32_e32 vcc, v9, v7
	v_fma_f16 v3, v11, v12, -v3
	v_cndmask_b32_e64 v7, 0, 1, vcc
	v_add_u32_e32 v9, 0xfffffc10, v8
	v_cvt_f32_f16_e32 v3, v3
	v_or_b32_e32 v7, v13, v7
	v_lshl_or_b32 v8, v9, 12, v5
	v_cmp_gt_i32_e32 vcc, 1, v9
	v_cndmask_b32_e32 v7, v8, v7, vcc
	v_and_b32_e32 v8, 7, v7
	v_cmp_lt_i32_e32 vcc, 5, v8
	v_cmp_eq_u32_e64 s[0:1], 3, v8
	v_lshrrev_b32_e32 v11, 2, v7
	v_cvt_f64_f32_e32 v[7:8], v3
	s_or_b64 vcc, s[0:1], vcc
	v_addc_co_u32_e32 v3, vcc, 0, v11, vcc
	v_mul_f64 v[7:8], v[7:8], s[14:15]
	v_cmp_gt_i32_e32 vcc, 31, v9
	v_cndmask_b32_e32 v3, v2, v3, vcc
	v_cmp_ne_u32_e32 vcc, 0, v5
	v_cndmask_b32_e64 v5, 0, 1, vcc
	v_lshl_or_b32 v5, v5, 9, v2
	v_cmp_eq_u32_e32 vcc, s17, v9
	v_cndmask_b32_e32 v3, v3, v5, vcc
	v_lshrrev_b32_e32 v5, 16, v6
	v_and_or_b32 v3, v5, s18, v3
	v_and_or_b32 v5, v8, s10, v7
	v_cmp_ne_u32_e32 vcc, 0, v5
	v_cndmask_b32_e64 v5, 0, 1, vcc
	v_lshrrev_b32_e32 v6, 8, v8
	v_bfe_u32 v7, v8, 20, 11
	v_and_or_b32 v5, v6, s16, v5
	v_sub_u32_e32 v9, 0x3f1, v7
	v_or_b32_e32 v6, 0x1000, v5
	v_med3_i32 v9, v9, 0, 13
	v_lshrrev_b32_e32 v11, v9, v6
	v_lshlrev_b32_e32 v9, v9, v11
	v_cmp_ne_u32_e32 vcc, v9, v6
	v_cndmask_b32_e64 v6, 0, 1, vcc
	v_add_u32_e32 v7, 0xfffffc10, v7
	v_or_b32_e32 v6, v11, v6
	v_lshl_or_b32 v9, v7, 12, v5
	v_cmp_gt_i32_e32 vcc, 1, v7
	v_cndmask_b32_e32 v6, v9, v6, vcc
	v_and_b32_e32 v9, 7, v6
	v_cmp_lt_i32_e32 vcc, 5, v9
	v_cmp_eq_u32_e64 s[0:1], 3, v9
	v_lshrrev_b32_e32 v9, 16, v4
	v_lshrrev_b32_e32 v6, 2, v6
	s_or_b64 vcc, s[0:1], vcc
	v_mul_f16_sdwa v11, v9, v10 dst_sel:DWORD dst_unused:UNUSED_PAD src0_sel:DWORD src1_sel:WORD_1
	v_addc_co_u32_e32 v6, vcc, 0, v6, vcc
	v_fma_f16 v11, v4, v10, v11
	v_cmp_gt_i32_e32 vcc, 31, v7
	v_cvt_f32_f16_e32 v11, v11
	v_cndmask_b32_e32 v6, v2, v6, vcc
	v_cmp_ne_u32_e32 vcc, 0, v5
	v_cndmask_b32_e64 v5, 0, 1, vcc
	v_lshl_or_b32 v5, v5, 9, v2
	v_cmp_eq_u32_e32 vcc, s17, v7
	v_cndmask_b32_e32 v7, v6, v5, vcc
	v_cvt_f64_f32_e32 v[5:6], v11
	v_lshrrev_b32_e32 v8, 16, v8
	v_and_or_b32 v7, v8, s18, v7
	v_and_b32_e32 v3, 0xffff, v3
	v_mul_f64 v[5:6], v[5:6], s[14:15]
	v_lshl_or_b32 v3, v7, 16, v3
	v_mov_b32_e32 v7, s2
	v_add_co_u32_e32 v0, vcc, s3, v0
	v_addc_co_u32_e32 v1, vcc, v1, v7, vcc
	global_store_dword v[0:1], v3, off
	v_and_or_b32 v3, v6, s10, v5
	v_cmp_ne_u32_e32 vcc, 0, v3
	v_cndmask_b32_e64 v3, 0, 1, vcc
	v_lshrrev_b32_e32 v5, 8, v6
	v_bfe_u32 v7, v6, 20, 11
	v_and_or_b32 v5, v5, s16, v3
	v_sub_u32_e32 v8, 0x3f1, v7
	v_or_b32_e32 v3, 0x1000, v5
	v_med3_i32 v8, v8, 0, 13
	v_lshrrev_b32_e32 v11, v8, v3
	v_lshlrev_b32_e32 v8, v8, v11
	v_mul_f16_sdwa v4, v4, v10 dst_sel:DWORD dst_unused:UNUSED_PAD src0_sel:DWORD src1_sel:WORD_1
	v_cmp_ne_u32_e32 vcc, v8, v3
	v_fma_f16 v4, v10, v9, -v4
	v_cndmask_b32_e64 v3, 0, 1, vcc
	v_add_u32_e32 v7, 0xfffffc10, v7
	v_cvt_f32_f16_e32 v4, v4
	v_or_b32_e32 v3, v11, v3
	v_lshl_or_b32 v8, v7, 12, v5
	v_cmp_gt_i32_e32 vcc, 1, v7
	v_cndmask_b32_e32 v3, v8, v3, vcc
	v_and_b32_e32 v8, 7, v3
	v_cmp_lt_i32_e32 vcc, 5, v8
	v_cmp_eq_u32_e64 s[0:1], 3, v8
	v_lshrrev_b32_e32 v8, 2, v3
	v_cvt_f64_f32_e32 v[3:4], v4
	s_or_b64 vcc, s[0:1], vcc
	v_addc_co_u32_e32 v8, vcc, 0, v8, vcc
	v_mul_f64 v[3:4], v[3:4], s[14:15]
	v_cmp_gt_i32_e32 vcc, 31, v7
	v_cndmask_b32_e32 v8, v2, v8, vcc
	v_cmp_ne_u32_e32 vcc, 0, v5
	v_cndmask_b32_e64 v5, 0, 1, vcc
	v_lshl_or_b32 v5, v5, 9, v2
	v_cmp_eq_u32_e32 vcc, s17, v7
	v_cndmask_b32_e32 v5, v8, v5, vcc
	v_and_or_b32 v3, v4, s10, v3
	v_lshrrev_b32_e32 v6, 16, v6
	v_cmp_ne_u32_e32 vcc, 0, v3
	v_and_or_b32 v5, v6, s18, v5
	v_cndmask_b32_e64 v3, 0, 1, vcc
	v_lshrrev_b32_e32 v6, 8, v4
	v_bfe_u32 v7, v4, 20, 11
	v_and_or_b32 v3, v6, s16, v3
	v_sub_u32_e32 v8, 0x3f1, v7
	v_or_b32_e32 v6, 0x1000, v3
	v_med3_i32 v8, v8, 0, 13
	v_lshrrev_b32_e32 v9, v8, v6
	v_lshlrev_b32_e32 v8, v8, v9
	v_cmp_ne_u32_e32 vcc, v8, v6
	v_cndmask_b32_e64 v6, 0, 1, vcc
	v_add_u32_e32 v7, 0xfffffc10, v7
	v_or_b32_e32 v6, v9, v6
	v_lshl_or_b32 v8, v7, 12, v3
	v_cmp_gt_i32_e32 vcc, 1, v7
	v_cndmask_b32_e32 v6, v8, v6, vcc
	v_and_b32_e32 v8, 7, v6
	v_cmp_lt_i32_e32 vcc, 5, v8
	v_cmp_eq_u32_e64 s[0:1], 3, v8
	v_lshrrev_b32_e32 v6, 2, v6
	s_or_b64 vcc, s[0:1], vcc
	v_addc_co_u32_e32 v6, vcc, 0, v6, vcc
	v_cmp_gt_i32_e32 vcc, 31, v7
	v_cndmask_b32_e32 v6, v2, v6, vcc
	v_cmp_ne_u32_e32 vcc, 0, v3
	v_cndmask_b32_e64 v3, 0, 1, vcc
	v_lshl_or_b32 v2, v3, 9, v2
	v_cmp_eq_u32_e32 vcc, s17, v7
	v_cndmask_b32_e32 v2, v6, v2, vcc
	v_lshrrev_b32_e32 v3, 16, v4
	v_and_or_b32 v2, v3, s18, v2
	v_and_b32_e32 v3, 0xffff, v5
	v_lshl_or_b32 v2, v2, 16, v3
	v_mov_b32_e32 v3, s2
	v_add_co_u32_e32 v0, vcc, s3, v0
	v_addc_co_u32_e32 v1, vcc, v1, v3, vcc
	global_store_dword v[0:1], v2, off
.LBB0_31:
	s_endpgm
	.section	.rodata,"a",@progbits
	.p2align	6, 0x0
	.amdhsa_kernel bluestein_single_back_len1320_dim1_half_op_CI_CI
		.amdhsa_group_segment_fixed_size 5280
		.amdhsa_private_segment_fixed_size 0
		.amdhsa_kernarg_size 104
		.amdhsa_user_sgpr_count 6
		.amdhsa_user_sgpr_private_segment_buffer 1
		.amdhsa_user_sgpr_dispatch_ptr 0
		.amdhsa_user_sgpr_queue_ptr 0
		.amdhsa_user_sgpr_kernarg_segment_ptr 1
		.amdhsa_user_sgpr_dispatch_id 0
		.amdhsa_user_sgpr_flat_scratch_init 0
		.amdhsa_user_sgpr_private_segment_size 0
		.amdhsa_uses_dynamic_stack 0
		.amdhsa_system_sgpr_private_segment_wavefront_offset 0
		.amdhsa_system_sgpr_workgroup_id_x 1
		.amdhsa_system_sgpr_workgroup_id_y 0
		.amdhsa_system_sgpr_workgroup_id_z 0
		.amdhsa_system_sgpr_workgroup_info 0
		.amdhsa_system_vgpr_workitem_id 0
		.amdhsa_next_free_vgpr 151
		.amdhsa_next_free_sgpr 30
		.amdhsa_reserve_vcc 1
		.amdhsa_reserve_flat_scratch 0
		.amdhsa_float_round_mode_32 0
		.amdhsa_float_round_mode_16_64 0
		.amdhsa_float_denorm_mode_32 3
		.amdhsa_float_denorm_mode_16_64 3
		.amdhsa_dx10_clamp 1
		.amdhsa_ieee_mode 1
		.amdhsa_fp16_overflow 0
		.amdhsa_exception_fp_ieee_invalid_op 0
		.amdhsa_exception_fp_denorm_src 0
		.amdhsa_exception_fp_ieee_div_zero 0
		.amdhsa_exception_fp_ieee_overflow 0
		.amdhsa_exception_fp_ieee_underflow 0
		.amdhsa_exception_fp_ieee_inexact 0
		.amdhsa_exception_int_div_zero 0
	.end_amdhsa_kernel
	.text
.Lfunc_end0:
	.size	bluestein_single_back_len1320_dim1_half_op_CI_CI, .Lfunc_end0-bluestein_single_back_len1320_dim1_half_op_CI_CI
                                        ; -- End function
	.section	.AMDGPU.csdata,"",@progbits
; Kernel info:
; codeLenInByte = 18932
; NumSgprs: 34
; NumVgprs: 151
; ScratchSize: 0
; MemoryBound: 0
; FloatMode: 240
; IeeeMode: 1
; LDSByteSize: 5280 bytes/workgroup (compile time only)
; SGPRBlocks: 4
; VGPRBlocks: 37
; NumSGPRsForWavesPerEU: 34
; NumVGPRsForWavesPerEU: 151
; Occupancy: 1
; WaveLimiterHint : 1
; COMPUTE_PGM_RSRC2:SCRATCH_EN: 0
; COMPUTE_PGM_RSRC2:USER_SGPR: 6
; COMPUTE_PGM_RSRC2:TRAP_HANDLER: 0
; COMPUTE_PGM_RSRC2:TGID_X_EN: 1
; COMPUTE_PGM_RSRC2:TGID_Y_EN: 0
; COMPUTE_PGM_RSRC2:TGID_Z_EN: 0
; COMPUTE_PGM_RSRC2:TIDIG_COMP_CNT: 0
	.type	__hip_cuid_715d19daa1210fe6,@object ; @__hip_cuid_715d19daa1210fe6
	.section	.bss,"aw",@nobits
	.globl	__hip_cuid_715d19daa1210fe6
__hip_cuid_715d19daa1210fe6:
	.byte	0                               ; 0x0
	.size	__hip_cuid_715d19daa1210fe6, 1

	.ident	"AMD clang version 19.0.0git (https://github.com/RadeonOpenCompute/llvm-project roc-6.4.0 25133 c7fe45cf4b819c5991fe208aaa96edf142730f1d)"
	.section	".note.GNU-stack","",@progbits
	.addrsig
	.addrsig_sym __hip_cuid_715d19daa1210fe6
	.amdgpu_metadata
---
amdhsa.kernels:
  - .args:
      - .actual_access:  read_only
        .address_space:  global
        .offset:         0
        .size:           8
        .value_kind:     global_buffer
      - .actual_access:  read_only
        .address_space:  global
        .offset:         8
        .size:           8
        .value_kind:     global_buffer
      - .actual_access:  read_only
        .address_space:  global
        .offset:         16
        .size:           8
        .value_kind:     global_buffer
      - .actual_access:  read_only
        .address_space:  global
        .offset:         24
        .size:           8
        .value_kind:     global_buffer
      - .actual_access:  read_only
        .address_space:  global
        .offset:         32
        .size:           8
        .value_kind:     global_buffer
      - .offset:         40
        .size:           8
        .value_kind:     by_value
      - .address_space:  global
        .offset:         48
        .size:           8
        .value_kind:     global_buffer
      - .address_space:  global
        .offset:         56
        .size:           8
        .value_kind:     global_buffer
      - .address_space:  global
        .offset:         64
        .size:           8
        .value_kind:     global_buffer
      - .address_space:  global
        .offset:         72
        .size:           8
        .value_kind:     global_buffer
      - .offset:         80
        .size:           4
        .value_kind:     by_value
      - .address_space:  global
        .offset:         88
        .size:           8
        .value_kind:     global_buffer
      - .address_space:  global
        .offset:         96
        .size:           8
        .value_kind:     global_buffer
    .group_segment_fixed_size: 5280
    .kernarg_segment_align: 8
    .kernarg_segment_size: 104
    .language:       OpenCL C
    .language_version:
      - 2
      - 0
    .max_flat_workgroup_size: 165
    .name:           bluestein_single_back_len1320_dim1_half_op_CI_CI
    .private_segment_fixed_size: 0
    .sgpr_count:     34
    .sgpr_spill_count: 0
    .symbol:         bluestein_single_back_len1320_dim1_half_op_CI_CI.kd
    .uniform_work_group_size: 1
    .uses_dynamic_stack: false
    .vgpr_count:     151
    .vgpr_spill_count: 0
    .wavefront_size: 64
amdhsa.target:   amdgcn-amd-amdhsa--gfx906
amdhsa.version:
  - 1
  - 2
...

	.end_amdgpu_metadata
